;; amdgpu-corpus repo=ROCm/rocFFT kind=compiled arch=gfx1201 opt=O3
	.text
	.amdgcn_target "amdgcn-amd-amdhsa--gfx1201"
	.amdhsa_code_object_version 6
	.protected	bluestein_single_fwd_len1870_dim1_half_op_CI_CI ; -- Begin function bluestein_single_fwd_len1870_dim1_half_op_CI_CI
	.globl	bluestein_single_fwd_len1870_dim1_half_op_CI_CI
	.p2align	8
	.type	bluestein_single_fwd_len1870_dim1_half_op_CI_CI,@function
bluestein_single_fwd_len1870_dim1_half_op_CI_CI: ; @bluestein_single_fwd_len1870_dim1_half_op_CI_CI
; %bb.0:
	s_load_b128 s[4:7], s[0:1], 0x28
	v_mul_u32_u24_e32 v1, 0x15f, v0
	s_mov_b32 s2, exec_lo
	v_mov_b32_e32 v17, 0
	s_delay_alu instid0(VALU_DEP_2) | instskip(NEXT) | instid1(VALU_DEP_1)
	v_lshrrev_b32_e32 v1, 16, v1
	v_add_nc_u32_e32 v16, ttmp9, v1
	s_wait_kmcnt 0x0
	s_delay_alu instid0(VALU_DEP_1)
	v_cmpx_gt_u64_e64 s[4:5], v[16:17]
	s_cbranch_execz .LBB0_23
; %bb.1:
	s_clause 0x1
	s_load_b64 s[12:13], s[0:1], 0x0
	s_load_b64 s[14:15], s[0:1], 0x38
	v_mul_lo_u16 v1, 0xbb, v1
	s_delay_alu instid0(VALU_DEP_1) | instskip(NEXT) | instid1(VALU_DEP_1)
	v_sub_nc_u16 v0, v0, v1
	v_and_b32_e32 v36, 0xffff, v0
	v_cmp_gt_u16_e32 vcc_lo, 0x6e, v0
	s_delay_alu instid0(VALU_DEP_2)
	v_lshlrev_b32_e32 v35, 2, v36
	s_and_saveexec_b32 s3, vcc_lo
	s_cbranch_execz .LBB0_3
; %bb.2:
	s_load_b64 s[4:5], s[0:1], 0x18
	s_delay_alu instid0(VALU_DEP_1)
	v_add_nc_u32_e32 v39, 0xa00, v35
	v_add_nc_u32_e32 v41, 0x1000, v35
	;; [unrolled: 1-line block ×3, first 2 shown]
	s_wait_kmcnt 0x0
	s_load_b128 s[8:11], s[4:5], 0x0
	s_wait_kmcnt 0x0
	v_mad_co_u64_u32 v[0:1], null, s10, v16, 0
	v_mad_co_u64_u32 v[2:3], null, s8, v36, 0
	s_mul_u64 s[4:5], s[8:9], 0x1b8
	s_delay_alu instid0(VALU_DEP_1) | instskip(NEXT) | instid1(VALU_DEP_2)
	v_mad_co_u64_u32 v[4:5], null, s11, v16, v[1:2]
	v_mov_b32_e32 v1, v3
	s_delay_alu instid0(VALU_DEP_1) | instskip(NEXT) | instid1(VALU_DEP_3)
	v_mad_co_u64_u32 v[5:6], null, s9, v36, v[1:2]
	v_mov_b32_e32 v1, v4
	s_clause 0x7
	global_load_b32 v4, v35, s[12:13]
	global_load_b32 v6, v35, s[12:13] offset:440
	global_load_b32 v7, v35, s[12:13] offset:880
	;; [unrolled: 1-line block ×7, first 2 shown]
	v_lshlrev_b64_e32 v[0:1], 2, v[0:1]
	v_mov_b32_e32 v3, v5
	s_clause 0x8
	global_load_b32 v5, v35, s[12:13] offset:3520
	global_load_b32 v13, v35, s[12:13] offset:3960
	global_load_b32 v14, v35, s[12:13] offset:4400
	global_load_b32 v15, v35, s[12:13] offset:4840
	global_load_b32 v17, v35, s[12:13] offset:5280
	global_load_b32 v18, v35, s[12:13] offset:5720
	global_load_b32 v19, v35, s[12:13] offset:6160
	global_load_b32 v20, v35, s[12:13] offset:6600
	global_load_b32 v21, v35, s[12:13] offset:7040
	v_lshlrev_b64_e32 v[2:3], 2, v[2:3]
	v_add_co_u32 v0, s2, s6, v0
	s_delay_alu instid0(VALU_DEP_1) | instskip(NEXT) | instid1(VALU_DEP_2)
	v_add_co_ci_u32_e64 v1, s2, s7, v1, s2
	v_add_co_u32 v0, s2, v0, v2
	s_wait_alu 0xf1ff
	s_delay_alu instid0(VALU_DEP_2) | instskip(SKIP_1) | instid1(VALU_DEP_2)
	v_add_co_ci_u32_e64 v1, s2, v1, v3, s2
	s_wait_alu 0xfffe
	v_add_co_u32 v2, s2, v0, s4
	s_wait_alu 0xf1ff
	s_delay_alu instid0(VALU_DEP_2)
	v_add_co_ci_u32_e64 v3, s2, s5, v1, s2
	s_clause 0x1
	global_load_b32 v22, v[0:1], off
	global_load_b32 v23, v[2:3], off
	v_add_co_u32 v0, s2, v2, s4
	s_wait_alu 0xf1ff
	v_add_co_ci_u32_e64 v1, s2, s5, v3, s2
	s_delay_alu instid0(VALU_DEP_2) | instskip(SKIP_1) | instid1(VALU_DEP_2)
	v_add_co_u32 v2, s2, v0, s4
	s_wait_alu 0xf1ff
	v_add_co_ci_u32_e64 v3, s2, s5, v1, s2
	s_clause 0x1
	global_load_b32 v24, v[0:1], off
	global_load_b32 v25, v[2:3], off
	v_add_co_u32 v0, s2, v2, s4
	s_wait_alu 0xf1ff
	v_add_co_ci_u32_e64 v1, s2, s5, v3, s2
	s_delay_alu instid0(VALU_DEP_2) | instskip(SKIP_1) | instid1(VALU_DEP_2)
	v_add_co_u32 v2, s2, v0, s4
	s_wait_alu 0xf1ff
	v_add_co_ci_u32_e64 v3, s2, s5, v1, s2
	global_load_b32 v26, v[0:1], off
	global_load_b32 v27, v[2:3], off
	v_add_co_u32 v0, s2, v2, s4
	s_wait_alu 0xf1ff
	v_add_co_ci_u32_e64 v1, s2, s5, v3, s2
	s_delay_alu instid0(VALU_DEP_2) | instskip(SKIP_1) | instid1(VALU_DEP_2)
	v_add_co_u32 v2, s2, v0, s4
	s_wait_alu 0xf1ff
	v_add_co_ci_u32_e64 v3, s2, s5, v1, s2
	global_load_b32 v28, v[0:1], off
	v_add_co_u32 v0, s2, v2, s4
	s_wait_alu 0xf1ff
	v_add_co_ci_u32_e64 v1, s2, s5, v3, s2
	global_load_b32 v29, v[2:3], off
	global_load_b32 v30, v[0:1], off
	v_add_co_u32 v0, s2, v0, s4
	s_wait_alu 0xf1ff
	v_add_co_ci_u32_e64 v1, s2, s5, v1, s2
	s_delay_alu instid0(VALU_DEP_2) | instskip(SKIP_1) | instid1(VALU_DEP_2)
	v_add_co_u32 v2, s2, v0, s4
	s_wait_alu 0xf1ff
	v_add_co_ci_u32_e64 v3, s2, s5, v1, s2
	global_load_b32 v31, v[0:1], off
	v_add_co_u32 v0, s2, v2, s4
	s_wait_alu 0xf1ff
	v_add_co_ci_u32_e64 v1, s2, s5, v3, s2
	global_load_b32 v32, v[2:3], off
	global_load_b32 v33, v[0:1], off
	v_add_co_u32 v0, s2, v0, s4
	s_wait_alu 0xf1ff
	v_add_co_ci_u32_e64 v1, s2, s5, v1, s2
	s_delay_alu instid0(VALU_DEP_2) | instskip(SKIP_1) | instid1(VALU_DEP_2)
	v_add_co_u32 v2, s2, v0, s4
	s_wait_alu 0xf1ff
	v_add_co_ci_u32_e64 v3, s2, s5, v1, s2
	global_load_b32 v34, v[0:1], off
	v_add_co_u32 v0, s2, v2, s4
	s_wait_alu 0xf1ff
	v_add_co_ci_u32_e64 v1, s2, s5, v3, s2
	global_load_b32 v37, v[2:3], off
	v_add_co_u32 v2, s2, v0, s4
	s_wait_alu 0xf1ff
	v_add_co_ci_u32_e64 v3, s2, s5, v1, s2
	global_load_b32 v38, v[0:1], off
	;; [unrolled: 4-line block ×3, first 2 shown]
	global_load_b32 v0, v[0:1], off
	v_add_nc_u32_e32 v1, 0x200, v35
	v_add_nc_u32_e32 v3, 0x600, v35
	s_wait_loadcnt 0x21
	v_lshrrev_b32_e32 v42, 16, v4
	s_wait_loadcnt 0x20
	v_lshrrev_b32_e32 v43, 16, v6
	s_wait_loadcnt 0x1f
	v_lshrrev_b32_e32 v44, 16, v7
	s_wait_loadcnt 0x1e
	v_lshrrev_b32_e32 v45, 16, v8
	s_wait_loadcnt 0x1d
	v_lshrrev_b32_e32 v46, 16, v9
	s_wait_loadcnt 0x1c
	v_lshrrev_b32_e32 v47, 16, v10
	s_wait_loadcnt 0x1b
	v_lshrrev_b32_e32 v48, 16, v11
	s_wait_loadcnt 0x1a
	v_lshrrev_b32_e32 v49, 16, v12
	s_wait_loadcnt 0x19
	v_lshrrev_b32_e32 v50, 16, v5
	s_wait_loadcnt 0x18
	v_lshrrev_b32_e32 v51, 16, v13
	s_wait_loadcnt 0x17
	v_lshrrev_b32_e32 v52, 16, v14
	s_wait_loadcnt 0x16
	v_lshrrev_b32_e32 v53, 16, v15
	s_wait_loadcnt 0x15
	v_lshrrev_b32_e32 v54, 16, v17
	s_wait_loadcnt 0x14
	v_lshrrev_b32_e32 v56, 16, v18
	s_wait_loadcnt 0x13
	v_lshrrev_b32_e32 v57, 16, v19
	s_wait_loadcnt 0x12
	v_lshrrev_b32_e32 v58, 16, v20
	s_wait_loadcnt 0x11
	v_lshrrev_b32_e32 v61, 16, v21
	s_wait_loadcnt 0x10
	v_lshrrev_b32_e32 v55, 16, v22
	v_mul_f16_e32 v59, v42, v22
	s_wait_loadcnt 0xf
	v_lshrrev_b32_e32 v60, 16, v23
	v_mul_f16_e32 v62, v43, v23
	v_mul_f16_e32 v42, v42, v55
	v_fma_f16 v55, v4, v55, -v59
	s_delay_alu instid0(VALU_DEP_2)
	v_fmac_f16_e32 v42, v4, v22
	v_mul_f16_e32 v4, v43, v60
	v_fma_f16 v43, v6, v60, -v62
	s_wait_loadcnt 0xe
	v_lshrrev_b32_e32 v22, 16, v24
	v_mul_f16_e32 v59, v44, v24
	v_fmac_f16_e32 v4, v6, v23
	s_wait_loadcnt 0xd
	v_lshrrev_b32_e32 v23, 16, v25
	v_pack_b32_f16 v42, v42, v55
	v_mul_f16_e32 v6, v44, v22
	v_mul_f16_e32 v44, v45, v25
	v_fma_f16 v22, v7, v22, -v59
	v_pack_b32_f16 v4, v4, v43
	s_delay_alu instid0(VALU_DEP_4)
	v_fmac_f16_e32 v6, v7, v24
	v_mul_f16_e32 v7, v45, v23
	s_wait_loadcnt 0xc
	v_lshrrev_b32_e32 v24, 16, v26
	v_fma_f16 v23, v8, v23, -v44
	v_mul_f16_e32 v43, v46, v26
	ds_store_2addr_b32 v35, v42, v4 offset1:110
	v_pack_b32_f16 v4, v6, v22
	v_fmac_f16_e32 v7, v8, v25
	v_mul_f16_e32 v6, v46, v24
	s_wait_loadcnt 0xb
	v_lshrrev_b32_e32 v8, 16, v27
	v_mul_f16_e32 v22, v47, v27
	v_fma_f16 v24, v9, v24, -v43
	v_pack_b32_f16 v7, v7, v23
	v_fmac_f16_e32 v6, v9, v26
	v_mul_f16_e32 v9, v47, v8
	v_fma_f16 v8, v10, v8, -v22
	s_wait_loadcnt 0xa
	v_lshrrev_b32_e32 v22, 16, v28
	v_mul_f16_e32 v23, v48, v28
	ds_store_2addr_b32 v1, v4, v7 offset0:92 offset1:202
	v_pack_b32_f16 v1, v6, v24
	v_fmac_f16_e32 v9, v10, v27
	v_mul_f16_e32 v4, v48, v22
	s_wait_loadcnt 0x9
	v_lshrrev_b32_e32 v6, 16, v29
	v_mul_f16_e32 v7, v49, v29
	v_fma_f16 v10, v11, v22, -v23
	v_pack_b32_f16 v8, v9, v8
	v_fmac_f16_e32 v4, v11, v28
	v_mul_f16_e32 v9, v49, v6
	v_fma_f16 v6, v12, v6, -v7
	s_wait_loadcnt 0x8
	v_lshrrev_b32_e32 v7, 16, v30
	v_mul_f16_e32 v11, v50, v30
	ds_store_2addr_b32 v3, v1, v8 offset0:56 offset1:166
	;; [unrolled: 15-line block ×3, first 2 shown]
	v_fmac_f16_e32 v5, v13, v31
	s_wait_loadcnt 0x5
	v_lshrrev_b32_e32 v6, 16, v33
	v_pack_b32_f16 v1, v3, v7
	v_mul_f16_e32 v3, v52, v8
	v_fma_f16 v7, v14, v8, -v9
	v_mul_f16_e32 v8, v53, v33
	v_pack_b32_f16 v4, v5, v4
	v_mul_f16_e32 v5, v53, v6
	v_fmac_f16_e32 v3, v14, v32
	s_wait_loadcnt 0x4
	v_lshrrev_b32_e32 v9, 16, v34
	v_fma_f16 v6, v15, v6, -v8
	v_mul_f16_e32 v8, v54, v34
	v_fmac_f16_e32 v5, v15, v33
	s_wait_loadcnt 0x3
	v_lshrrev_b32_e32 v10, 16, v37
	v_pack_b32_f16 v3, v3, v7
	v_mul_f16_e32 v7, v54, v9
	v_fma_f16 v8, v17, v9, -v8
	v_mul_f16_e32 v9, v56, v37
	v_pack_b32_f16 v5, v5, v6
	v_mul_f16_e32 v6, v56, v10
	v_fmac_f16_e32 v7, v17, v34
	s_wait_loadcnt 0x2
	v_lshrrev_b32_e32 v11, 16, v38
	v_fma_f16 v9, v18, v10, -v9
	v_mul_f16_e32 v10, v57, v38
	v_fmac_f16_e32 v6, v18, v37
	s_wait_loadcnt 0x1
	v_lshrrev_b32_e32 v12, 16, v2
	s_wait_loadcnt 0x0
	v_lshrrev_b32_e32 v13, 16, v0
	v_pack_b32_f16 v7, v7, v8
	v_mul_f16_e32 v8, v57, v11
	v_fma_f16 v10, v19, v11, -v10
	v_mul_f16_e32 v11, v58, v2
	v_pack_b32_f16 v6, v6, v9
	v_mul_f16_e32 v9, v58, v12
	v_mul_f16_e32 v14, v61, v13
	;; [unrolled: 1-line block ×3, first 2 shown]
	v_fmac_f16_e32 v8, v19, v38
	v_fma_f16 v11, v20, v12, -v11
	v_fmac_f16_e32 v9, v20, v2
	v_fmac_f16_e32 v14, v21, v0
	v_fma_f16 v0, v21, v13, -v15
	v_add_nc_u32_e32 v2, 0x1400, v35
	v_pack_b32_f16 v8, v8, v10
	v_pack_b32_f16 v9, v9, v11
	v_add_nc_u32_e32 v10, 0x1800, v35
	v_pack_b32_f16 v0, v14, v0
	ds_store_2addr_b32 v40, v1, v4 offset0:112 offset1:222
	ds_store_2addr_b32 v41, v3, v5 offset0:76 offset1:186
	;; [unrolled: 1-line block ×4, first 2 shown]
	ds_store_b32 v35, v0 offset:7040
.LBB0_3:
	s_or_b32 exec_lo, exec_lo, s3
	s_load_b64 s[2:3], s[0:1], 0x20
	v_mov_b32_e32 v6, 0
	global_wb scope:SCOPE_SE
	s_wait_dscnt 0x0
	s_wait_kmcnt 0x0
	s_barrier_signal -1
	s_barrier_wait -1
	global_inv scope:SCOPE_SE
                                        ; implicit-def: $vgpr21
                                        ; implicit-def: $vgpr1
                                        ; implicit-def: $vgpr3
                                        ; implicit-def: $vgpr5
                                        ; implicit-def: $vgpr9
                                        ; implicit-def: $vgpr13
                                        ; implicit-def: $vgpr11
                                        ; implicit-def: $vgpr15
                                        ; implicit-def: $vgpr69
	s_and_saveexec_b32 s4, vcc_lo
	s_cbranch_execz .LBB0_5
; %bb.4:
	v_add_nc_u32_e32 v0, 0x200, v35
	v_add_nc_u32_e32 v1, 0x600, v35
	;; [unrolled: 1-line block ×3, first 2 shown]
	ds_load_2addr_b32 v[6:7], v35 offset1:110
	v_add_nc_u32_e32 v3, 0x1400, v35
	ds_load_2addr_b32 v[14:15], v0 offset0:92 offset1:202
	ds_load_2addr_b32 v[10:11], v1 offset0:56 offset1:166
	v_add_nc_u32_e32 v0, 0xc00, v35
	v_add_nc_u32_e32 v1, 0x1000, v35
	v_add_nc_u32_e32 v17, 0x1800, v35
	ds_load_2addr_b32 v[12:13], v2 offset0:20 offset1:130
	ds_load_2addr_b32 v[8:9], v0 offset0:112 offset1:222
	;; [unrolled: 1-line block ×5, first 2 shown]
	ds_load_b32 v21, v35 offset:7040
	s_wait_dscnt 0x7
	v_alignbit_b32 v69, v14, v14, 16
.LBB0_5:
	s_wait_alu 0xfffe
	s_or_b32 exec_lo, exec_lo, s4
	s_wait_dscnt 0x0
	v_pk_add_f16 v23, v7, v21 neg_lo:[0,1] neg_hi:[0,1]
	v_pk_add_f16 v25, v69, v1 op_sel:[1,0] op_sel_hi:[0,1] neg_lo:[0,1] neg_hi:[0,1]
	v_pk_add_f16 v14, v21, v7
	v_pk_add_f16 v24, v1, v69 op_sel:[1,0] op_sel_hi:[0,1]
	v_pk_add_f16 v27, v15, v0 neg_lo:[0,1] neg_hi:[0,1]
	v_lshrrev_b32_e32 v38, 16, v23
	v_lshrrev_b32_e32 v39, 16, v25
	v_pk_add_f16 v26, v0, v15
	v_lshrrev_b32_e32 v76, 16, v24
	v_lshrrev_b32_e32 v44, 16, v27
	v_mul_f16_e32 v60, 0xbbb2, v38
	v_mul_f16_e32 v62, 0x3836, v39
	;; [unrolled: 1-line block ×5, first 2 shown]
	v_fmamk_f16 v19, v14, 0xb461, v60
	v_fmamk_f16 v31, v76, 0xbacd, v62
	;; [unrolled: 1-line block ×4, first 2 shown]
	v_mul_f16_e32 v53, 0xb1e1, v39
	v_add_f16_e32 v19, v19, v6
	v_mul_f16_e32 v70, 0x3964, v44
	v_add_f16_e32 v17, v17, v6
	v_add_f16_e32 v18, v18, v6
	v_fmamk_f16 v20, v76, 0xb8d2, v50
	v_add_f16_e32 v19, v31, v19
	v_pk_add_f16 v31, v10, v3 neg_lo:[0,1] neg_hi:[0,1]
	v_fmamk_f16 v28, v76, 0xbbdd, v53
	v_mul_f16_e32 v56, 0x31e1, v44
	v_fmamk_f16 v34, v26, 0x39e9, v70
	v_add_f16_e32 v17, v20, v17
	v_lshrrev_b32_e32 v66, 16, v31
	v_add_f16_e32 v18, v28, v18
	v_mul_f16_e32 v64, 0x3bb2, v44
	v_pk_add_f16 v28, v3, v10
	v_fmamk_f16 v20, v26, 0xbbdd, v56
	v_mul_f16_e32 v57, 0x3bb2, v66
	v_add_f16_e32 v19, v34, v19
	v_pk_add_f16 v34, v11, v2 neg_lo:[0,1] neg_hi:[0,1]
	v_fmamk_f16 v33, v26, 0xb461, v64
	v_add_f16_e32 v17, v20, v17
	v_fmamk_f16 v20, v28, 0xb461, v57
	v_mul_f16_e32 v65, 0x35c8, v66
	v_lshrrev_b32_e32 v67, 16, v34
	v_pk_add_f16 v46, v12, v5 neg_lo:[0,1] neg_hi:[0,1]
	v_pk_mul_f16 v22, 0x3b7639e9, v14
	v_add_f16_e32 v18, v33, v18
	v_mul_f16_e32 v74, 0xbb29, v66
	v_pk_add_f16 v33, v2, v11
	v_add_f16_e32 v17, v20, v17
	v_fmamk_f16 v20, v28, 0x3b76, v65
	v_mul_f16_e32 v61, 0x3964, v67
	v_lshrrev_b32_e32 v101, 16, v46
	v_mul_f16_e32 v73, 0xbb29, v67
	v_pk_mul_f16 v37, 0xbbf7b964, v25
	v_pk_fma_f16 v29, 0xb964b5c8, v23, v22 op_sel:[0,0,1] op_sel_hi:[1,1,0]
	v_fmamk_f16 v43, v28, 0x3722, v74
	v_add_f16_e32 v18, v20, v18
	v_fmamk_f16 v20, v33, 0x39e9, v61
	v_mul_f16_e32 v78, 0xb1e1, v67
	v_pk_add_f16 v47, v5, v12
	v_mul_f16_e32 v63, 0xb5c8, v101
	v_fmamk_f16 v54, v33, 0x3722, v73
	v_pk_fma_f16 v30, 0x2de839e9, v24, v37
	v_pk_mul_f16 v40, 0x3722b8d2, v26
	v_add_f16_e32 v19, v43, v19
	v_add_f16_e32 v17, v20, v17
	v_fmamk_f16 v20, v33, 0xbbdd, v78
	v_fmamk_f16 v55, v47, 0x3b76, v63
	v_add_f16_e32 v18, v54, v18
	v_lshrrev_b32_e32 v54, 16, v29
	v_pk_fma_f16 v45, 0xba62bb29, v27, v40 op_sel:[0,0,1] op_sel_hi:[1,1,0]
	v_pk_mul_f16 v41, 0x2de8bbdd, v28
	v_add_f16_e32 v19, v20, v19
	v_add_f16_e32 v17, v55, v17
	v_pk_add_f16 v55, v13, v4 neg_lo:[0,1] neg_hi:[0,1]
	v_add_f16_e32 v20, v54, v6
	v_lshrrev_b32_e32 v58, 16, v30
	v_pk_fma_f16 v48, 0xb1e1bbf7, v31, v41 op_sel:[0,0,1] op_sel_hi:[1,1,0]
	v_pk_mul_f16 v42, 0xb461bacd, v33
	v_mul_f16_e32 v80, 0xb836, v101
	v_lshrrev_b32_e32 v104, 16, v55
	v_add_f16_e32 v20, v58, v20
	v_lshrrev_b32_e32 v58, 16, v45
	v_pk_fma_f16 v52, 0x3836bbb2, v34, v42 op_sel:[0,0,1] op_sel_hi:[1,1,0]
	v_pk_mul_f16 v43, 0xb8d2b461, v47
	v_mul_f16_e32 v87, 0x3bf7, v101
	v_pk_add_f16 v54, v4, v13
	v_fmamk_f16 v59, v47, 0xbacd, v80
	v_mul_f16_e32 v75, 0xbbf7, v104
	v_add_f16_e32 v20, v58, v20
	v_lshrrev_b32_e32 v58, 16, v48
	v_pk_fma_f16 v68, 0x3bb2ba62, v46, v43 op_sel:[0,0,1] op_sel_hi:[1,1,0]
	v_fmamk_f16 v71, v47, 0x2de8, v87
	v_pk_mul_f16 v107, 0xbacd3722, v54
	v_add_f16_e32 v18, v59, v18
	v_fmamk_f16 v59, v54, 0x2de8, v75
	v_add_f16_e32 v20, v58, v20
	v_lshrrev_b32_e32 v72, 16, v52
	v_pk_add_f16 v58, v9, v8
	v_add_f16_e32 v19, v71, v19
	v_pk_fma_f16 v71, 0x3b29b836, v55, v107 op_sel:[0,0,1] op_sel_hi:[1,1,0]
	v_add_f16_e32 v17, v59, v17
	v_mul_f16_e32 v81, 0x3a62, v104
	v_pk_add_f16 v59, v8, v9 neg_lo:[0,1] neg_hi:[0,1]
	v_add_f16_e32 v20, v72, v20
	v_lshrrev_b32_e32 v72, 16, v68
	v_pk_mul_f16 v121, 0xbbdd3b76, v58
	v_fmamk_f16 v79, v54, 0xb8d2, v81
	v_lshrrev_b32_e32 v165, 16, v59
	v_mul_f16_e32 v88, 0xb5c8, v104
	v_add_f16_e32 v20, v72, v20
	v_lshrrev_b32_e32 v82, 16, v71
	v_pk_fma_f16 v72, 0x35c8b1e1, v59, v121 op_sel:[0,0,1] op_sel_hi:[1,1,0]
	v_mul_f16_e64 v77, 0xb836, v165
	v_add_f16_e32 v79, v79, v18
	v_fmamk_f16 v18, v54, 0x3b76, v88
	v_add_f16_e32 v20, v82, v20
	v_mul_f16_e64 v82, 0x3964, v165
	v_mul_f16_e64 v91, 0xba62, v165
	v_lshrrev_b32_e32 v83, 16, v72
	v_mul_f16_e32 v32, 0xb5c8, v38
	v_fmamk_f16 v84, v58, 0xbacd, v77
	v_add_f16_e32 v19, v18, v19
	v_fmamk_f16 v85, v58, 0x39e9, v82
	v_fmamk_f16 v86, v58, 0xb8d2, v91
	v_add_f16_e32 v18, v83, v20
	v_lshrrev_b32_e32 v135, 16, v14
	v_mul_f16_e32 v83, 0xb964, v23
	v_add_f16_e32 v17, v84, v17
	v_fmamk_f16 v84, v14, 0x3b76, v32
	v_add_f16_e32 v20, v85, v79
	v_add_f16_e32 v19, v86, v19
	v_mul_f16_e32 v79, 0xb964, v39
	v_mul_f16_e32 v92, 0xbb29, v23
	v_lshrrev_b32_e32 v85, 16, v6
	v_fma_f16 v89, v135, 0x39e9, -v83
	v_mul_f16_e32 v86, 0xbbf7, v25
	v_add_f16_e32 v84, v84, v6
	v_fma_f16 v90, v135, 0x3722, -v92
	v_fmamk_f16 v94, v76, 0x39e9, v79
	v_mul_f16_e32 v93, 0xba62, v25
	v_add_f16_e32 v89, v89, v85
	v_fma_f16 v95, v24, 0x2de8, -v86
	v_mul_f16_e32 v98, 0xbbf7, v23
	v_mul_f16_e32 v109, 0xbbb2, v23
	v_add_f16_e32 v90, v90, v85
	v_fma_f16 v96, v24, 0xb8d2, -v93
	v_add_f16_e32 v94, v94, v84
	v_add_f16_e32 v95, v95, v89
	v_fma_f16 v84, v135, 0x2de8, -v98
	v_mul_f16_e32 v100, 0xb1e1, v25
	v_fma_f16 v89, v135, 0xb461, -v109
	v_mul_f16_e32 v122, 0xba62, v38
	v_mul_f16_e32 v110, 0x3836, v25
	v_add_f16_e32 v90, v96, v90
	v_add_f16_e32 v84, v84, v85
	v_fma_f16 v96, v24, 0xbbdd, -v100
	v_add_f16_e32 v89, v89, v85
	v_fmamk_f16 v97, v14, 0xb8d2, v122
	v_mul_f16_e32 v124, 0x3bb2, v39
	v_fma_f16 v99, v24, 0xbacd, -v110
	v_mul_f16_e64 v131, 0xba62, v23
	v_add_f16_e32 v96, v96, v84
	v_add_f16_e32 v84, v97, v6
	v_fmamk_f16 v97, v76, 0xb461, v124
	v_add_f16_e32 v102, v99, v89
	v_fma_f16 v89, v135, 0xb8d2, -v131
	v_mul_f16_e64 v132, 0x3bb2, v25
	v_mul_f16_e64 v141, 0xb836, v38
	;; [unrolled: 1-line block ×3, first 2 shown]
	v_add_f16_e32 v38, v97, v84
	v_add_f16_e32 v84, v89, v85
	v_fma_f16 v89, v24, 0xb461, -v132
	v_fma_f16 v97, 0xbacd, v14, v141
	v_mul_f16_e64 v142, 0x3b29, v39
	v_fma_f16 v39, v135, 0xbacd, -v150
	v_mul_f16_e64 v152, 0x3b29, v25
	v_add_f16_e32 v103, v89, v84
	v_add_f16_e32 v97, v97, v6
	v_fma_f16 v105, 0x3722, v76, v142
	v_add_f16_e32 v39, v39, v85
	v_fma_f16 v106, v24, 0x3722, -v152
	v_mul_f16_e32 v84, 0xbb29, v44
	v_lshrrev_b32_e32 v136, 16, v26
	v_mul_f16_e32 v89, 0xba62, v27
	v_mul_f16_e32 v99, 0x31e1, v27
	v_add_f16_e32 v97, v105, v97
	v_add_f16_e32 v39, v106, v39
	v_fmamk_f16 v105, v26, 0x3722, v84
	v_fma_f16 v108, v136, 0xb8d2, -v89
	v_fma_f16 v111, v136, 0xbbdd, -v99
	v_mul_f16_e32 v106, 0x3bb2, v27
	v_mul_f16_e32 v126, 0x3964, v27
	v_add_f16_e32 v94, v105, v94
	v_add_f16_e32 v105, v108, v95
	;; [unrolled: 1-line block ×3, first 2 shown]
	v_fma_f16 v90, v136, 0xb461, -v106
	v_fma_f16 v95, v136, 0x39e9, -v126
	v_mul_f16_e64 v130, 0xb5c8, v44
	v_mul_f16_e64 v139, 0xb5c8, v27
	;; [unrolled: 1-line block ×3, first 2 shown]
	v_add_f16_e32 v44, v90, v96
	v_add_f16_e32 v96, v95, v102
	v_fma_f16 v95, 0x3b76, v26, v130
	v_mul_f16_e32 v90, 0xbbf7, v66
	v_fma_f16 v102, v136, 0x3b76, -v139
	v_fma_f16 v111, 0x2de8, v26, v149
	v_mul_f16_e64 v158, 0xbbf7, v27
	v_add_f16_e32 v38, v95, v38
	v_fmamk_f16 v113, v28, 0x2de8, v90
	v_lshrrev_b32_e32 v140, 16, v28
	v_mul_f16_e32 v95, 0xb1e1, v31
	v_add_f16_e32 v102, v102, v103
	v_add_f16_e32 v111, v111, v97
	v_fma_f16 v97, v136, 0x2de8, -v158
	v_mul_f16_e32 v103, 0x3bb2, v31
	v_add_f16_e32 v113, v113, v94
	v_fma_f16 v94, v140, 0xbbdd, -v95
	v_mul_f16_e64 v129, 0xbb29, v31
	v_mul_f16_e32 v112, 0x35c8, v31
	v_add_f16_e32 v39, v97, v39
	v_fma_f16 v97, v140, 0xb461, -v103
	v_mul_f16_e64 v137, 0xb836, v66
	v_add_f16_e32 v105, v94, v105
	v_fma_f16 v94, v140, 0x3722, -v129
	v_mul_f16_e64 v148, 0xb836, v31
	v_fma_f16 v114, v140, 0x3b76, -v112
	v_add_f16_e32 v115, v97, v108
	v_fma_f16 v97, 0xbacd, v28, v137
	v_mul_f16_e64 v156, 0x3a62, v66
	v_mul_f16_e64 v162, 0x3a62, v31
	v_add_f16_e32 v66, v94, v96
	v_fma_f16 v96, v140, 0xbacd, -v148
	v_mul_f16_e32 v94, 0xbbb2, v67
	v_add_f16_e32 v44, v114, v44
	v_add_f16_e32 v38, v97, v38
	v_fma_f16 v108, 0xb8d2, v28, v156
	v_fma_f16 v114, v140, 0xb8d2, -v162
	v_lshrrev_b32_e32 v143, 16, v33
	v_mul_f16_e32 v97, 0x3836, v34
	v_add_f16_e32 v102, v96, v102
	v_fmamk_f16 v96, v33, 0xb461, v94
	v_mul_f16_e32 v123, 0xbb29, v34
	v_add_f16_e32 v111, v108, v111
	v_add_f16_e32 v39, v114, v39
	v_fma_f16 v114, v143, 0xbacd, -v97
	v_mul_f16_e32 v108, 0x3964, v34
	v_mul_f16_e64 v134, 0xb1e1, v34
	v_add_f16_e32 v116, v96, v113
	v_fma_f16 v113, v143, 0x3722, -v123
	v_mul_f16_e64 v144, 0x3bf7, v67
	v_add_f16_e32 v105, v114, v105
	v_fma_f16 v96, v143, 0x39e9, -v108
	v_fma_f16 v114, v143, 0xbbdd, -v134
	v_mul_f16_e64 v154, 0x3bf7, v34
	v_add_f16_e32 v44, v113, v44
	v_fma_f16 v113, 0x2de8, v33, v144
	v_mul_f16_e64 v166, 0xb5c8, v34
	v_add_f16_e32 v115, v96, v115
	v_add_f16_e32 v66, v114, v66
	v_fma_f16 v114, v143, 0x2de8, -v154
	v_mul_f16_e64 v161, 0xb5c8, v67
	v_mul_f16_e32 v96, 0xba62, v101
	v_add_f16_e32 v38, v113, v38
	v_fma_f16 v117, v143, 0x3b76, -v166
	v_lshrrev_b32_e32 v146, 16, v47
	v_mul_f16_e32 v113, 0xb5c8, v46
	v_add_f16_e32 v67, v114, v102
	v_fma_f16 v114, 0x3b76, v33, v161
	v_fmamk_f16 v118, v47, 0xb8d2, v96
	v_add_f16_e32 v39, v117, v39
	v_fma_f16 v117, v146, 0x3b76, -v113
	v_mul_f16_e64 v138, 0x3bf7, v46
	v_mul_f16_e64 v151, 0xb964, v101
	v_mul_f16_e32 v102, 0x3bb2, v46
	v_add_f16_e32 v111, v114, v111
	v_add_f16_e32 v114, v118, v116
	;; [unrolled: 1-line block ×3, first 2 shown]
	v_fma_f16 v117, v146, 0x2de8, -v138
	v_fma_f16 v118, 0x39e9, v47, v151
	v_mul_f16_e64 v160, 0xb964, v46
	v_mul_f16_e64 v164, 0xb1e1, v101
	v_fma_f16 v116, v146, 0xb461, -v102
	v_mul_f16_e64 v128, 0xb836, v46
	v_add_f16_e32 v66, v117, v66
	v_add_f16_e32 v38, v118, v38
	v_fma_f16 v117, v146, 0x39e9, -v160
	v_fma_f16 v118, 0xbbdd, v47, v164
	v_mul_f16_e32 v101, 0xb836, v104
	v_add_f16_e32 v116, v116, v105
	v_fma_f16 v105, v146, 0xbacd, -v128
	v_lshrrev_b32_e32 v153, 16, v54
	v_add_f16_e32 v67, v117, v67
	v_add_f16_e32 v117, v118, v111
	v_fmamk_f16 v118, v54, 0xbacd, v101
	v_mul_f16_e64 v133, 0x3a62, v55
	v_add_f16_e32 v44, v105, v44
	v_mul_f16_e64 v168, 0xb1e1, v46
	v_mul_f16_e64 v157, 0xb1e1, v104
	v_add_f16_e32 v114, v118, v114
	v_fma_f16 v118, v153, 0xb8d2, -v133
	v_mul_f16_e32 v125, 0xbbf7, v55
	v_fma_f16 v111, v146, 0xbbdd, -v168
	v_mul_f16_e64 v170, 0x3964, v55
	v_mul_f16_e64 v145, 0xb5c8, v55
	v_add_f16_e32 v44, v118, v44
	v_fma_f16 v118, 0xbbdd, v54, v157
	v_add_f16_e32 v39, v111, v39
	v_fma_f16 v111, v153, 0x2de8, -v125
	v_mul_f16_e64 v167, 0x3964, v104
	v_mul_f16_e64 v104, 0xb1e1, v165
	v_add_f16_e64 v173, v118, v38
	v_fma_f16 v118, v153, 0x39e9, -v170
	v_pk_fma_f16 v120, 0xb964b5c8, v23, v22 op_sel:[0,0,1] op_sel_hi:[1,1,0] neg_lo:[0,1,0] neg_hi:[0,1,0]
	v_mul_f16_e32 v105, 0x3b29, v55
	v_add_f16_e32 v115, v111, v115
	v_fma_f16 v111, v153, 0x3b76, -v145
	v_fma_f16 v38, 0x39e9, v54, v167
	v_lshrrev_b32_e32 v155, 16, v58
	v_add_f16_e64 v175, v118, v39
	v_fmamk_f16 v22, v58, 0xbbdd, v104
	v_mul_f16_e32 v127, 0xb836, v59
	v_pk_fma_f16 v118, 0x2de839e9, v24, v37 neg_lo:[0,0,1] neg_hi:[0,0,1]
	v_add_f16_e32 v37, v120, v85
	v_fma_f16 v119, v153, 0x3722, -v105
	v_add_f16_e32 v66, v111, v66
	v_mul_f16_e32 v111, 0x35c8, v59
	v_add_f16_e64 v174, v38, v117
	v_add_f16_e32 v38, v22, v114
	v_fma_f16 v22, v155, 0xbacd, -v127
	v_pk_fma_f16 v114, 0xba62bb29, v27, v40 op_sel:[0,0,1] op_sel_hi:[1,1,0] neg_lo:[0,1,0] neg_hi:[0,1,0]
	v_add_f16_e32 v37, v118, v37
	v_add_f16_e32 v116, v119, v116
	v_fma_f16 v39, v155, 0x3b76, -v111
	v_mul_f16_e64 v159, 0xba62, v59
	v_add_f16_e32 v40, v22, v115
	v_pk_fma_f16 v117, 0xb1e1bbf7, v31, v41 op_sel:[0,0,1] op_sel_hi:[1,1,0] neg_lo:[0,1,0] neg_hi:[0,1,0]
	v_add_f16_e32 v22, v114, v37
	v_mul_f16_e64 v163, 0xb1e1, v55
	v_add_f16_e32 v39, v39, v116
	v_fma_f16 v116, v155, 0xb8d2, -v159
	v_pk_fma_f16 v115, 0x3836bbb2, v34, v42 op_sel:[0,0,1] op_sel_hi:[1,1,0] neg_lo:[0,1,0] neg_hi:[0,1,0]
	v_add_f16_e32 v22, v117, v22
	v_fma_f16 v119, v153, 0xbbdd, -v163
	v_mul_f16_e64 v147, 0x3964, v59
	v_add_f16_e32 v42, v116, v66
	v_pk_fma_f16 v116, 0x3bb2ba62, v46, v43 op_sel:[0,0,1] op_sel_hi:[1,1,0] neg_lo:[0,1,0] neg_hi:[0,1,0]
	v_add_f16_e32 v22, v115, v22
	s_load_b64 s[8:9], s[0:1], 0x8
	v_add_f16_e32 v67, v119, v67
	v_fma_f16 v37, v155, 0x39e9, -v147
	v_mul_f16_e64 v169, 0x3b29, v59
	v_mul_f16_e64 v171, 0xbbb2, v165
	;; [unrolled: 1-line block ×3, first 2 shown]
	v_pk_fma_f16 v119, 0x3b29b836, v55, v107 op_sel:[0,0,1] op_sel_hi:[1,1,0] neg_lo:[0,1,0] neg_hi:[0,1,0]
	v_add_f16_e32 v22, v116, v22
	v_mul_f16_e64 v165, 0x3b29, v165
	v_add_f16_e32 v41, v37, v44
	v_fma_f16 v37, v155, 0x3722, -v169
	v_fma_f16 v43, 0xb461, v58, v171
	v_fma_f16 v107, v155, 0xb461, -v172
	v_pk_fma_f16 v121, 0x35c8b1e1, v59, v121 op_sel:[0,0,1] op_sel_hi:[1,1,0] neg_lo:[0,1,0] neg_hi:[0,1,0]
	v_add_f16_e32 v22, v119, v22
	v_fma_f16 v176, 0x3722, v58, v165
	v_add_f16_e32 v44, v37, v67
	v_add_f16_e64 v66, v43, v174
	v_add_f16_e64 v67, v107, v175
	v_add_f16_e32 v43, v121, v22
	v_add_f16_e64 v22, v176, v173
	v_mul_lo_u16 v37, v36, 17
	global_wb scope:SCOPE_SE
	s_wait_kmcnt 0x0
	s_barrier_signal -1
	s_barrier_wait -1
	global_inv scope:SCOPE_SE
	s_and_saveexec_b32 s0, vcc_lo
	s_cbranch_execz .LBB0_7
; %bb.6:
	v_mul_f16_e64 v176, 0xbacd, v135
	v_mul_f16_e64 v183, 0xbacd, v14
	;; [unrolled: 1-line block ×5, first 2 shown]
	v_add_f16_e64 v150, v150, v176
	v_mul_f16_e64 v176, 0x3722, v24
	v_sub_f16_e64 v141, v183, v141
	v_add_f16_e64 v166, v166, v188
	v_mul_f16_e64 v179, 0x2de8, v135
	v_add_f16_e64 v150, v150, v85
	v_add_f16_e64 v152, v152, v176
	v_mul_f16_e64 v176, 0x2de8, v136
	v_add_f16_e64 v141, v141, v6
	v_mul_f16_e64 v181, 0xb461, v135
	v_mul_f16_e64 v135, 0xb8d2, v135
	v_add_f16_e64 v150, v152, v150
	v_add_f16_e64 v152, v158, v176
	v_mul_f16_e64 v158, 0xb8d2, v140
	v_mul_f16_e64 v188, 0xbbdd, v146
	v_add_f16_e64 v131, v131, v135
	v_mul_f16_e64 v182, 0xb8d2, v14
	v_add_f16_e64 v150, v152, v150
	v_add_f16_e64 v152, v162, v158
	;; [unrolled: 1-line block ×4, first 2 shown]
	v_mul_f16_e64 v184, 0x39e9, v76
	v_mul_f16_e64 v185, 0xb8d2, v76
	v_add_f16_e64 v150, v152, v150
	v_mul_f16_e64 v152, 0x3722, v76
	v_mul_f16_e64 v158, 0xbbdd, v76
	;; [unrolled: 1-line block ×3, first 2 shown]
	v_mul_f16_e32 v76, 0xb461, v76
	v_add_f16_e64 v150, v166, v150
	v_sub_f16_e64 v142, v152, v142
	v_mul_f16_e64 v166, 0x2de8, v26
	v_mul_f16_e64 v152, 0xb461, v24
	v_sub_f16_e64 v122, v182, v122
	v_add_f16_e64 v150, v168, v150
	v_add_f16_e64 v141, v142, v141
	v_sub_f16_e64 v149, v166, v149
	v_mul_f16_e64 v166, 0xb8d2, v28
	v_mul_f16_e64 v142, 0x39e9, v153
	v_add_f16_e64 v132, v132, v152
	v_mul_f16_e64 v168, 0xb8d2, v136
	v_add_f16_e64 v141, v149, v141
	v_sub_f16_e64 v149, v166, v156
	v_mul_f16_e64 v166, 0x3b76, v33
	v_add_f16_e64 v142, v170, v142
	v_mul_f16_e64 v156, 0xbbdd, v136
	v_add_f16_e64 v131, v132, v131
	v_add_f16_e64 v141, v149, v141
	v_sub_f16_e64 v161, v166, v161
	v_mul_f16_e64 v149, 0xb461, v155
	v_mul_f16_e64 v166, 0xb461, v136
	;; [unrolled: 1-line block ×3, first 2 shown]
	v_add_f16_e64 v142, v142, v150
	v_add_f16_e64 v141, v161, v141
	v_mul_f16_e64 v161, 0xbbdd, v47
	v_add_f16_e64 v149, v172, v149
	v_mul_f16_e64 v172, 0x39e9, v136
	v_mul_f16_e64 v136, 0x3b76, v136
	v_sub_f16_e64 v132, v132, v167
	v_sub_f16_e64 v161, v161, v164
	v_add_f16_e64 v142, v149, v142
	v_mul_f16_e64 v149, 0x2de8, v143
	v_add_f16_e64 v136, v139, v136
	v_mul_f16_e64 v183, 0xbacd, v24
	;; [unrolled: 2-line block ×3, first 2 shown]
	v_add_f16_e64 v149, v154, v149
	v_add_f16_e64 v131, v136, v131
	v_mul_f16_e64 v152, 0x3b76, v26
	v_add_f16_e64 v132, v132, v141
	v_add_f16_e64 v148, v148, v161
	v_mul_f16_e64 v141, 0xb461, v58
	v_sub_f16_e32 v76, v76, v124
	v_add_f16_e32 v122, v122, v6
	v_add_f16_e64 v109, v109, v181
	v_add_f16_e64 v131, v148, v131
	v_sub_f16_e64 v141, v141, v171
	v_mul_f16_e64 v171, 0x39e9, v146
	v_mul_f16_e64 v180, 0xb461, v14
	v_add_f16_e32 v76, v76, v122
	v_add_f16_e64 v131, v149, v131
	v_mul_f16_e64 v149, 0xbacd, v28
	v_add_f16_e64 v160, v160, v171
	v_sub_f16_e64 v130, v152, v130
	v_add_f16_e32 v109, v109, v85
	v_add_f16_e64 v110, v110, v183
	v_mul_f16_e64 v139, 0xbbdd, v140
	v_add_f16_e64 v131, v160, v131
	v_mul_f16_e64 v160, 0xbbdd, v153
	v_mul_f16_e64 v136, 0xb461, v140
	;; [unrolled: 1-line block ×4, first 2 shown]
	v_add_f16_e64 v76, v130, v76
	v_add_f16_e64 v160, v163, v160
	v_mul_f16_e64 v130, 0x3722, v155
	v_sub_f16_e64 v137, v149, v137
	v_mul_f16_e64 v149, 0x2de8, v33
	v_add_f16_e32 v109, v110, v109
	v_add_f16_e64 v126, v126, v172
	v_sub_f16_e64 v60, v180, v60
	v_mul_f16_e64 v135, 0x39e9, v26
	v_mul_f16_e64 v171, 0xbacd, v143
	v_add_f16_e64 v132, v141, v132
	v_mul_f16_e64 v141, 0x39e9, v143
	v_mul_f16_e64 v152, 0x3722, v143
	;; [unrolled: 1-line block ×3, first 2 shown]
	v_add_f16_e64 v131, v160, v131
	v_add_f16_e64 v130, v169, v130
	;; [unrolled: 1-line block ×3, first 2 shown]
	v_sub_f16_e64 v144, v149, v144
	v_add_f16_e32 v109, v126, v109
	v_add_f16_e64 v129, v129, v140
	v_sub_f16_e64 v62, v187, v62
	v_add_f16_e32 v60, v60, v6
	v_mul_f16_e64 v154, 0x3722, v28
	v_mul_f16_e64 v169, 0xb461, v146
	;; [unrolled: 1-line block ×3, first 2 shown]
	v_add_f16_e64 v130, v130, v131
	v_mul_f16_e64 v131, 0xbacd, v146
	v_add_f16_e64 v76, v144, v76
	v_mul_f16_e64 v144, 0x39e9, v47
	v_mul_f16_e64 v146, 0x2de8, v146
	v_mul_f16_e32 v110, 0xbbdd, v54
	v_add_f16_e64 v109, v129, v109
	v_add_f16_e64 v134, v134, v143
	v_add_f16_e32 v60, v62, v60
	v_sub_f16_e64 v70, v135, v70
	v_mul_f16_e64 v162, 0xbbdd, v24
	v_mul_f16_e64 v163, 0xbbdd, v33
	v_sub_f16_e64 v144, v144, v151
	v_mul_f16_e64 v172, 0x3722, v153
	v_sub_f16_e64 v110, v110, v157
	v_mul_f16_e64 v157, 0x2de8, v153
	v_mul_f16_e64 v140, 0xb8d2, v153
	;; [unrolled: 1-line block ×4, first 2 shown]
	v_add_f16_e64 v109, v134, v109
	v_add_f16_e64 v138, v138, v146
	;; [unrolled: 1-line block ×3, first 2 shown]
	v_add_f16_e32 v60, v70, v60
	v_sub_f16_e64 v70, v154, v74
	v_mul_f16_e64 v183, 0x2de8, v47
	v_add_f16_e64 v76, v144, v76
	v_mul_f16_e64 v143, 0x3b76, v155
	v_sub_f16_e64 v165, v180, v165
	v_mul_f16_e64 v180, 0xbacd, v155
	v_mul_f16_e64 v62, 0x39e9, v155
	;; [unrolled: 1-line block ×3, first 2 shown]
	v_add_f16_e64 v74, v138, v109
	v_add_f16_e64 v109, v145, v153
	v_add_f16_e32 v98, v98, v85
	v_add_f16_e64 v100, v100, v162
	v_add_f16_e32 v60, v70, v60
	v_sub_f16_e64 v70, v163, v78
	v_mul_f16_e64 v178, 0x2de8, v14
	v_add_f16_e32 v76, v110, v76
	v_mul_f16_e32 v110, 0x3b76, v54
	v_add_f16_e32 v74, v109, v74
	v_add_f16_e64 v78, v159, v155
	v_add_f16_e32 v98, v100, v98
	v_add_f16_e64 v100, v106, v166
	v_add_f16_e32 v60, v70, v60
	v_sub_f16_e64 v70, v183, v87
	v_mul_f16_e64 v135, 0xb8d2, v58
	v_add_f16_e32 v74, v78, v74
	v_sub_f16_e64 v51, v178, v51
	v_add_f16_e32 v78, v100, v98
	v_add_f16_e64 v87, v112, v148
	v_add_f16_e32 v60, v70, v60
	v_sub_f16_e32 v70, v110, v88
	v_mul_f16_e64 v150, 0xb461, v26
	v_add_f16_e32 v51, v51, v6
	v_sub_f16_e64 v53, v158, v53
	v_add_f16_e32 v78, v87, v78
	v_add_f16_e64 v87, v123, v152
	v_add_f16_e32 v60, v70, v60
	v_sub_f16_e64 v70, v135, v91
	v_mul_f16_e64 v186, 0xb8d2, v24
	v_mul_f16_e64 v161, 0x3b76, v28
	v_add_f16_e32 v51, v53, v51
	v_sub_f16_e64 v53, v150, v64
	v_add_f16_e32 v64, v87, v78
	v_add_f16_e64 v78, v128, v131
	v_add_f16_e32 v60, v70, v60
	v_add_f16_e64 v70, v92, v177
	v_mul_f16_e32 v122, 0x3722, v33
	v_add_f16_e32 v51, v53, v51
	v_sub_f16_e64 v53, v161, v65
	v_add_f16_e32 v64, v78, v64
	v_add_f16_e64 v65, v133, v140
	v_add_f16_e32 v70, v70, v85
	v_add_f16_e64 v78, v93, v186
	v_mul_f16_e64 v175, 0x3722, v14
	v_mul_f16_e64 v181, 0xbacd, v47
	v_add_f16_e32 v51, v53, v51
	v_sub_f16_e32 v53, v122, v73
	v_add_f16_e32 v64, v65, v64
	v_add_f16_e64 v62, v147, v62
	v_add_f16_e32 v65, v78, v70
	v_add_f16_e64 v70, v99, v156
	v_mul_f16_e32 v126, 0xb8d2, v54
	v_add_f16_e32 v51, v53, v51
	v_sub_f16_e64 v53, v181, v80
	v_add_f16_e32 v62, v62, v64
	v_sub_f16_e64 v49, v175, v49
	v_add_f16_e32 v64, v70, v65
	v_add_f16_e64 v65, v103, v136
	v_alignbit_b32 v107, v6, v6, 16
	v_mul_f16_e64 v170, 0xbbdd, v26
	v_mul_f16_e64 v134, 0x39e9, v58
	v_add_f16_e32 v51, v53, v51
	v_sub_f16_e32 v53, v126, v81
	v_add_f16_e32 v49, v49, v6
	v_sub_f16_e64 v50, v185, v50
	v_add_f16_e32 v64, v65, v64
	v_add_f16_e64 v65, v108, v141
	v_alignbit_b32 v69, v69, v69, 16
	v_mul_f16_e64 v176, 0x2de8, v24
	v_mul_f16_e64 v167, 0xb461, v28
	v_add_f16_e32 v51, v53, v51
	v_sub_f16_e64 v53, v134, v82
	v_add_f16_e32 v49, v50, v49
	v_sub_f16_e64 v50, v170, v56
	v_add_f16_e32 v56, v65, v64
	v_add_f16_e64 v64, v113, v149
	v_add_f16_e64 v65, v83, v174
	v_pk_add_f16 v7, v7, v107 op_sel:[0,1] op_sel_hi:[1,0]
	v_add_f16_e32 v51, v53, v51
	v_add_f16_e32 v49, v50, v49
	v_sub_f16_e64 v50, v167, v57
	v_add_f16_e32 v53, v64, v56
	v_add_f16_e32 v56, v65, v85
	v_add_f16_e64 v57, v86, v176
	v_pk_add_f16 v7, v69, v7
	v_mul_f16_e64 v173, 0x3b76, v14
	v_mul_f16_e64 v188, 0x3722, v26
	;; [unrolled: 1-line block ×3, first 2 shown]
	v_add_f16_e32 v56, v57, v56
	v_add_f16_e64 v57, v89, v168
	v_pk_add_f16 v7, v15, v7
	v_sub_f16_e64 v32, v173, v32
	v_mul_f16_e64 v182, 0xb461, v33
	v_mul_f16_e64 v160, 0xb8d2, v47
	v_add_f16_e32 v56, v57, v56
	v_add_f16_e64 v57, v95, v139
	v_pk_add_f16 v7, v10, v7
	v_add_f16_e64 v10, v97, v171
	v_add_f16_e32 v6, v32, v6
	v_sub_f16_e64 v32, v184, v79
	v_add_f16_e32 v56, v57, v56
	v_pk_add_f16 v7, v11, v7
	v_add_f16_e64 v11, v102, v169
	v_mul_f16_e64 v151, 0xbacd, v54
	v_add_f16_e32 v6, v32, v6
	v_add_f16_e32 v10, v10, v56
	v_pk_add_f16 v7, v12, v7
	v_mul_f16_e64 v129, 0xbbdd, v58
	v_mul_f16_e32 v124, 0x39e9, v33
	v_mul_f16_e64 v137, 0x3b76, v47
	v_add_f16_e32 v10, v11, v10
	v_add_f16_e64 v11, v105, v172
	v_pk_add_f16 v7, v13, v7
	v_sub_f16_e64 v13, v188, v84
	v_add_f16_e32 v49, v50, v49
	v_sub_f16_e32 v50, v124, v61
	v_add_f16_e32 v10, v11, v10
	v_bfi_b32 v11, 0xffff, v29, v120
	v_pk_add_f16 v7, v8, v7
	v_bfi_b32 v29, 0xffff, v30, v118
	v_add_f16_e32 v6, v13, v6
	v_sub_f16_e64 v8, v164, v90
	v_add_f16_e64 v13, v111, v143
	v_pk_add_f16 v7, v9, v7
	v_pk_add_f16 v9, v11, v107
	v_bfi_b32 v11, 0xffff, v45, v114
	v_add_f16_e32 v6, v8, v6
	v_sub_f16_e64 v8, v182, v94
	v_pk_add_f16 v4, v4, v7
	v_pk_add_f16 v7, v29, v9
	v_bfi_b32 v9, 0xffff, v48, v117
	v_mul_f16_e64 v144, 0x2de8, v54
	v_add_f16_e32 v6, v8, v6
	v_pk_add_f16 v4, v5, v4
	v_pk_add_f16 v5, v11, v7
	v_sub_f16_e64 v8, v160, v96
	v_add_f16_e32 v7, v13, v10
	v_bfi_b32 v10, 0xffff, v52, v115
	v_pk_add_f16 v2, v2, v4
	v_pk_add_f16 v4, v9, v5
	v_add_f16_e32 v6, v8, v6
	v_bfi_b32 v8, 0xffff, v68, v116
	v_sub_f16_e64 v5, v151, v101
	v_pk_add_f16 v2, v3, v2
	v_pk_add_f16 v3, v10, v4
	v_bfi_b32 v9, 0xffff, v71, v119
	v_pk_mul_f16 v10, 0xb836, v27 op_sel_hi:[0,1]
	v_add_f16_e32 v4, v5, v6
	v_pk_add_f16 v0, v0, v2
	v_pk_add_f16 v2, v8, v3
	v_pk_mul_f16 v3, 0xb1e1, v23 op_sel_hi:[0,1]
	v_sub_f16_e64 v5, v129, v104
	v_bfi_b32 v6, 0xffff, v72, v121
	v_pk_add_f16 v0, v1, v0
	v_pk_add_f16 v1, v9, v2
	v_pk_fma_f16 v2, 0xbbdd, v14, v3 op_sel:[0,0,1] op_sel_hi:[0,1,0] neg_lo:[0,0,1] neg_hi:[0,0,1]
	v_pk_fma_f16 v3, 0xbbdd, v14, v3 op_sel:[0,0,1] op_sel_hi:[0,1,0]
	v_pk_mul_f16 v8, 0x35c8, v25 op_sel_hi:[0,1]
	v_add_f16_e32 v4, v5, v4
	v_pk_add_f16 v1, v6, v1
	v_add_f16_e32 v49, v50, v49
	v_bfi_b32 v6, 0xffff, v2, v3
	v_pk_fma_f16 v9, 0x3b76, v24, v8 op_sel_hi:[0,1,1] neg_lo:[0,0,1] neg_hi:[0,0,1]
	v_pk_fma_f16 v8, 0x3b76, v24, v8 op_sel_hi:[0,1,1]
	v_sub_f16_e64 v50, v137, v63
	v_alignbit_b32 v7, v7, v1, 16
	v_pack_b32_f16 v1, v4, v1
	v_pk_add_f16 v4, v6, v107 op_sel:[0,1] op_sel_hi:[1,0]
	v_alignbit_b32 v6, v8, v9, 16
	v_pk_fma_f16 v11, 0xbacd, v26, v10 op_sel:[0,0,1] op_sel_hi:[0,1,0] neg_lo:[0,0,1] neg_hi:[0,0,1]
	v_pk_fma_f16 v10, 0xbacd, v26, v10 op_sel:[0,0,1] op_sel_hi:[0,1,0]
	v_pk_mul_f16 v13, 0x3964, v31 op_sel_hi:[0,1]
	v_bfi_b32 v2, 0xffff, v3, v2
	v_mul_f16_e64 v187, 0xbacd, v58
	v_add_f16_e64 v64, v125, v157
	v_add_f16_e32 v49, v50, v49
	v_sub_f16_e64 v50, v144, v75
	v_pk_add_f16 v0, v21, v0
	v_pk_add_f16 v4, v6, v4
	v_bfi_b32 v3, 0xffff, v11, v10
	v_pk_fma_f16 v6, 0x39e9, v28, v13 op_sel:[0,0,1] op_sel_hi:[0,1,0] neg_lo:[0,0,1] neg_hi:[0,0,1]
	v_pk_fma_f16 v13, 0x39e9, v28, v13 op_sel:[0,0,1] op_sel_hi:[0,1,0]
	v_pk_mul_f16 v21, 0xba62, v34 op_sel_hi:[0,1]
	v_pk_add_f16 v2, v2, v107 op_sel:[0,1] op_sel_hi:[1,0]
	v_alignbit_b32 v8, v9, v8, 16
	v_add_f16_e32 v53, v64, v53
	v_add_f16_e64 v15, v127, v180
	v_add_f16_e32 v49, v50, v49
	v_sub_f16_e64 v12, v187, v77
	v_pk_add_f16 v3, v3, v4
	v_bfi_b32 v4, 0xffff, v6, v13
	v_pk_fma_f16 v9, 0xb8d2, v33, v21 op_sel:[0,0,1] op_sel_hi:[0,1,0] neg_lo:[0,0,1] neg_hi:[0,0,1]
	v_pk_fma_f16 v21, 0xb8d2, v33, v21 op_sel:[0,0,1] op_sel_hi:[0,1,0]
	v_pk_add_f16 v2, v8, v2
	v_bfi_b32 v8, 0xffff, v10, v11
	v_add_f16_e32 v15, v15, v53
	v_add_f16_e32 v12, v12, v49
	v_pk_mul_f16 v11, 0x3b29, v46 op_sel_hi:[0,1]
	v_pk_add_f16 v3, v4, v3
	v_bfi_b32 v4, 0xffff, v9, v21
	v_pk_add_f16 v2, v8, v2
	v_bfi_b32 v6, 0xffff, v13, v6
	v_pack_b32_f16 v10, v12, v15
	v_pk_fma_f16 v8, 0x3722, v47, v11 op_sel:[0,0,1] op_sel_hi:[0,1,0] neg_lo:[0,0,1] neg_hi:[0,0,1]
	v_pk_fma_f16 v11, 0x3722, v47, v11 op_sel:[0,0,1] op_sel_hi:[0,1,0]
	v_pk_mul_f16 v12, 0xbbb2, v55 op_sel_hi:[0,1]
	v_pk_add_f16 v3, v4, v3
	v_pk_add_f16 v2, v6, v2
	v_bfi_b32 v4, 0xffff, v21, v9
	v_bfi_b32 v6, 0xffff, v8, v11
	v_pk_fma_f16 v9, 0xb461, v54, v12 op_sel:[0,0,1] op_sel_hi:[0,1,0] neg_lo:[0,0,1] neg_hi:[0,0,1]
	v_pk_fma_f16 v12, 0xb461, v54, v12 op_sel:[0,0,1] op_sel_hi:[0,1,0]
	v_pk_mul_f16 v13, 0x3bf7, v59 op_sel_hi:[0,1]
	v_pk_add_f16 v2, v4, v2
	v_bfi_b32 v4, 0xffff, v11, v8
	v_and_b32_e32 v5, 0xffff, v37
	v_pk_add_f16 v3, v6, v3
	v_bfi_b32 v6, 0xffff, v9, v12
	v_pk_fma_f16 v8, 0x2de8, v58, v13 op_sel:[0,0,1] op_sel_hi:[0,1,0] neg_lo:[0,0,1] neg_hi:[0,0,1]
	v_pk_fma_f16 v11, 0x2de8, v58, v13 op_sel:[0,0,1] op_sel_hi:[0,1,0]
	v_pk_add_f16 v2, v4, v2
	v_bfi_b32 v4, 0xffff, v12, v9
	v_add_f16_e64 v76, v165, v76
	v_lshlrev_b32_e32 v5, 2, v5
	v_pk_add_f16 v3, v6, v3
	v_bfi_b32 v6, 0xffff, v8, v11
	v_pk_add_f16 v2, v4, v2
	v_bfi_b32 v4, 0xffff, v11, v8
	v_pack_b32_f16 v14, v51, v62
	v_pack_b32_f16 v9, v76, v130
	;; [unrolled: 1-line block ×3, first 2 shown]
	ds_store_b32 v5, v0
	ds_store_2addr_b32 v5, v1, v7 offset0:1 offset1:2
	ds_store_2addr_b32 v5, v10, v14 offset0:3 offset1:4
	ds_store_2addr_b32 v5, v12, v9 offset0:5 offset1:6
	v_pk_add_f16 v0, v6, v3
	v_pack_b32_f16 v1, v132, v142
	v_pk_add_f16 v2, v4, v2
	v_perm_b32 v3, v67, v66, 0x5040100
	v_perm_b32 v4, v42, v19, 0x5040100
	;; [unrolled: 1-line block ×7, first 2 shown]
	ds_store_2addr_b32 v5, v1, v0 offset0:7 offset1:8
	ds_store_2addr_b32 v5, v2, v3 offset0:9 offset1:10
	;; [unrolled: 1-line block ×5, first 2 shown]
.LBB0_7:
	s_wait_alu 0xfffe
	s_or_b32 exec_lo, exec_lo, s0
	v_and_b32_e32 v0, 0xff, v36
	s_load_b128 s[4:7], s[2:3], 0x0
	global_wb scope:SCOPE_SE
	s_wait_dscnt 0x0
	s_wait_kmcnt 0x0
	s_barrier_signal -1
	s_barrier_wait -1
	v_mul_lo_u16 v0, 0xf1, v0
	global_inv scope:SCOPE_SE
	v_add_nc_u32_e32 v10, 0x500, v35
	v_add_nc_u32_e32 v12, 0xb00, v35
	;; [unrolled: 1-line block ×3, first 2 shown]
	v_lshrrev_b16 v21, 12, v0
	v_add_nc_u32_e32 v23, 0x1700, v35
	v_cmp_gt_u16_e64 s0, 0xaa, v36
	s_delay_alu instid0(VALU_DEP_3) | instskip(SKIP_1) | instid1(VALU_DEP_2)
	v_mul_lo_u16 v0, v21, 17
	v_and_b32_e32 v21, 0xffff, v21
	v_sub_nc_u16 v0, v36, v0
	s_delay_alu instid0(VALU_DEP_2) | instskip(NEXT) | instid1(VALU_DEP_2)
	v_mul_u32_u24_e32 v21, 0xaa, v21
	v_and_b32_e32 v25, 0xff, v0
	s_delay_alu instid0(VALU_DEP_1) | instskip(NEXT) | instid1(VALU_DEP_3)
	v_mad_co_u64_u32 v[8:9], null, v25, 36, s[8:9]
	v_add_lshl_u32 v45, v21, v25, 2
	s_clause 0x2
	global_load_b128 v[4:7], v[8:9], off
	global_load_b128 v[0:3], v[8:9], off offset:16
	global_load_b32 v46, v[8:9], off offset:32
	ds_load_2addr_b32 v[8:9], v35 offset1:187
	ds_load_2addr_b32 v[10:11], v10 offset0:54 offset1:241
	ds_load_2addr_b32 v[12:13], v12 offset0:44 offset1:231
	;; [unrolled: 1-line block ×4, first 2 shown]
	global_wb scope:SCOPE_SE
	s_wait_loadcnt_dscnt 0x0
	s_barrier_signal -1
	s_barrier_wait -1
	global_inv scope:SCOPE_SE
	v_lshrrev_b32_e32 v29, 16, v12
	v_lshrrev_b32_e32 v26, 16, v9
	;; [unrolled: 1-line block ×19, first 2 shown]
	v_mul_f16_e32 v21, v26, v65
	v_mul_f16_e32 v48, v9, v65
	;; [unrolled: 1-line block ×18, first 2 shown]
	v_fma_f16 v9, v9, v4, -v21
	v_fmac_f16_e32 v48, v26, v4
	v_fma_f16 v10, v10, v5, -v25
	v_fmac_f16_e32 v49, v27, v5
	;; [unrolled: 2-line block ×9, first 2 shown]
	v_add_f16_e32 v24, v8, v10
	v_add_f16_e32 v25, v12, v14
	v_sub_f16_e32 v26, v49, v72
	v_sub_f16_e32 v28, v10, v12
	v_sub_f16_e32 v29, v21, v14
	v_add_f16_e32 v30, v10, v21
	v_sub_f16_e32 v31, v12, v10
	v_sub_f16_e32 v32, v14, v21
	v_add_f16_e32 v33, v47, v49
	v_sub_f16_e32 v52, v49, v53
	v_sub_f16_e32 v54, v72, v68
	;; [unrolled: 3-line block ×3, first 2 shown]
	v_add_f16_e32 v71, v9, v11
	v_add_f16_e32 v73, v13, v15
	;; [unrolled: 1-line block ×7, first 2 shown]
	v_sub_f16_e32 v50, v12, v14
	v_sub_f16_e32 v75, v51, v74
	;; [unrolled: 1-line block ×6, first 2 shown]
	v_add_f16_e32 v12, v24, v12
	v_fma_f16 v24, -0.5, v25, v8
	v_add_f16_e32 v25, v28, v29
	v_fmac_f16_e32 v8, -0.5, v30
	v_add_f16_e32 v28, v31, v32
	v_add_f16_e32 v30, v52, v54
	v_add_f16_e32 v31, v49, v69
	v_add_f16_e32 v13, v71, v13
	v_fma_f16 v32, -0.5, v73, v9
	v_add_f16_e32 v49, v82, v55
	v_fma_f16 v52, -0.5, v83, v48
	v_sub_f16_e32 v76, v55, v70
	v_fmac_f16_e32 v9, -0.5, v79
	v_fmac_f16_e32 v48, -0.5, v87
	v_sub_f16_e32 v27, v53, v68
	v_sub_f16_e32 v78, v23, v15
	;; [unrolled: 1-line block ×6, first 2 shown]
	v_add_f16_e32 v29, v33, v53
	v_fma_f16 v53, -0.5, v34, v47
	v_fmac_f16_e32 v47, -0.5, v56
	v_add_f16_e32 v13, v13, v15
	v_fmamk_f16 v15, v75, 0x3b9c, v32
	v_add_f16_e32 v49, v49, v70
	v_fmamk_f16 v70, v11, 0xbb9c, v52
	v_sub_f16_e32 v51, v55, v51
	v_fmamk_f16 v69, v76, 0xbb9c, v9
	v_fmac_f16_e32 v9, 0x3b9c, v76
	v_fmamk_f16 v71, v84, 0x3b9c, v48
	v_fmac_f16_e32 v48, 0xbb9c, v84
	v_fmac_f16_e32 v32, 0xbb9c, v75
	;; [unrolled: 1-line block ×3, first 2 shown]
	v_sub_f16_e32 v10, v10, v21
	v_add_f16_e32 v33, v77, v78
	v_add_f16_e32 v54, v85, v86
	;; [unrolled: 1-line block ×3, first 2 shown]
	v_fmamk_f16 v14, v26, 0x3b9c, v24
	v_fmac_f16_e32 v24, 0xbb9c, v26
	v_fmamk_f16 v55, v27, 0xbb9c, v8
	v_fmac_f16_e32 v8, 0x3b9c, v27
	v_add_f16_e32 v29, v29, v68
	v_fmamk_f16 v68, v50, 0x3b9c, v47
	v_fmac_f16_e32 v47, 0xbb9c, v50
	v_fmac_f16_e32 v15, 0x38b4, v76
	;; [unrolled: 1-line block ×3, first 2 shown]
	v_add_f16_e32 v34, v80, v81
	v_add_f16_e32 v51, v51, v88
	v_fmac_f16_e32 v69, 0x38b4, v75
	v_fmac_f16_e32 v9, 0xb8b4, v75
	;; [unrolled: 1-line block ×6, first 2 shown]
	v_fmamk_f16 v56, v10, 0xbb9c, v53
	v_fmac_f16_e32 v53, 0x3b9c, v10
	v_add_f16_e32 v12, v12, v21
	v_fmac_f16_e32 v14, 0x38b4, v27
	v_fmac_f16_e32 v24, 0xb8b4, v27
	;; [unrolled: 1-line block ×6, first 2 shown]
	v_add_f16_e32 v10, v13, v23
	v_fmac_f16_e32 v15, 0x34f2, v33
	v_fmac_f16_e32 v70, 0x34f2, v54
	v_add_f16_e32 v26, v29, v72
	v_add_f16_e32 v13, v49, v74
	v_fmac_f16_e32 v69, 0x34f2, v34
	v_fmac_f16_e32 v9, 0x34f2, v34
	;; [unrolled: 1-line block ×11, first 2 shown]
	v_add_f16_e32 v25, v12, v10
	v_sub_f16_e32 v28, v12, v10
	v_mul_f16_e32 v10, 0x38b4, v70
	v_mul_f16_e32 v23, 0xb8b4, v15
	v_add_f16_e32 v21, v26, v13
	v_sub_f16_e32 v73, v26, v13
	v_mul_f16_e32 v11, 0x3b9c, v71
	v_mul_f16_e32 v12, 0x34f2, v9
	;; [unrolled: 1-line block ×4, first 2 shown]
	v_fmac_f16_e32 v53, 0x38b4, v50
	v_mul_f16_e32 v13, 0x3a79, v32
	v_mul_f16_e32 v27, 0x3a79, v52
	v_fmac_f16_e32 v56, 0x34f2, v30
	v_fmac_f16_e32 v10, 0x3a79, v15
	;; [unrolled: 1-line block ×6, first 2 shown]
	v_fma_f16 v12, v48, 0x3b9c, -v12
	v_fmac_f16_e32 v49, 0x34f2, v71
	v_fma_f16 v9, v9, 0xbb9c, -v26
	v_fmac_f16_e32 v53, 0x34f2, v30
	v_fma_f16 v13, v52, 0x38b4, -v13
	v_fma_f16 v15, v32, 0xb8b4, -v27
	v_add_f16_e32 v26, v14, v10
	v_add_f16_e32 v79, v56, v23
	;; [unrolled: 1-line block ×8, first 2 shown]
	v_sub_f16_e32 v33, v14, v10
	v_sub_f16_e32 v34, v55, v11
	;; [unrolled: 1-line block ×8, first 2 shown]
	v_pack_b32_f16 v50, v25, v21
	v_pack_b32_f16 v8, v26, v79
	;; [unrolled: 1-line block ×10, first 2 shown]
	ds_store_2addr_b32 v45, v50, v8 offset1:17
	ds_store_2addr_b32 v45, v9, v10 offset0:34 offset1:51
	ds_store_2addr_b32 v45, v11, v51 offset0:68 offset1:85
	;; [unrolled: 1-line block ×4, first 2 shown]
	global_wb scope:SCOPE_SE
	s_wait_dscnt 0x0
	s_barrier_signal -1
	s_barrier_wait -1
	global_inv scope:SCOPE_SE
	s_and_saveexec_b32 s1, s0
	s_cbranch_execz .LBB0_9
; %bb.8:
	v_add_nc_u32_e32 v8, 0x400, v35
	v_add_nc_u32_e32 v9, 0xa00, v35
	;; [unrolled: 1-line block ×3, first 2 shown]
	ds_load_2addr_b32 v[25:26], v35 offset1:170
	ds_load_2addr_b32 v[29:30], v8 offset0:84 offset1:254
	v_add_nc_u32_e32 v8, 0x1400, v35
	ds_load_2addr_b32 v[27:28], v9 offset0:40 offset1:210
	ds_load_2addr_b32 v[33:34], v10 offset0:60 offset1:230
	;; [unrolled: 1-line block ×3, first 2 shown]
	ds_load_b32 v66, v35 offset:6800
	s_wait_dscnt 0x5
	v_lshrrev_b32_e32 v21, 16, v25
	v_lshrrev_b32_e32 v79, 16, v26
	s_wait_dscnt 0x4
	v_lshrrev_b32_e32 v78, 16, v29
	v_lshrrev_b32_e32 v76, 16, v30
	s_wait_dscnt 0x3
	v_lshrrev_b32_e32 v75, 16, v27
	v_lshrrev_b32_e32 v73, 16, v28
	s_wait_dscnt 0x2
	v_lshrrev_b32_e32 v82, 16, v33
	v_lshrrev_b32_e32 v81, 16, v34
	s_wait_dscnt 0x1
	v_lshrrev_b32_e32 v80, 16, v31
	v_lshrrev_b32_e32 v74, 16, v32
	s_wait_dscnt 0x0
	v_lshrrev_b32_e32 v67, 16, v66
.LBB0_9:
	s_wait_alu 0xfffe
	s_or_b32 exec_lo, exec_lo, s1
	v_add_nc_u32_e32 v8, 0xffffff56, v36
	s_delay_alu instid0(VALU_DEP_1) | instskip(NEXT) | instid1(VALU_DEP_1)
	v_cndmask_b32_e64 v8, v8, v36, s0
	v_mul_i32_i24_e32 v9, 40, v8
	v_mul_hi_i32_i24_e32 v8, 40, v8
	s_delay_alu instid0(VALU_DEP_2) | instskip(SKIP_1) | instid1(VALU_DEP_2)
	v_add_co_u32 v23, s1, s8, v9
	s_wait_alu 0xf1ff
	v_add_co_ci_u32_e64 v24, s1, s9, v8, s1
	s_clause 0x2
	global_load_b128 v[12:15], v[23:24], off offset:612
	global_load_b128 v[8:11], v[23:24], off offset:628
	global_load_b64 v[23:24], v[23:24], off offset:644
	s_wait_loadcnt 0x2
	v_lshrrev_b32_e32 v55, 16, v12
	v_lshrrev_b32_e32 v53, 16, v13
	;; [unrolled: 1-line block ×4, first 2 shown]
	s_wait_loadcnt 0x1
	v_lshrrev_b32_e32 v50, 16, v10
	v_lshrrev_b32_e32 v52, 16, v11
	s_wait_loadcnt 0x0
	v_lshrrev_b32_e32 v54, 16, v23
	v_lshrrev_b32_e32 v56, 16, v24
	v_mul_f16_e32 v83, v79, v55
	v_mul_f16_e32 v84, v26, v55
	v_lshrrev_b32_e32 v47, 16, v8
	v_lshrrev_b32_e32 v48, 16, v9
	v_mul_f16_e32 v85, v78, v53
	v_mul_f16_e32 v86, v29, v53
	;; [unrolled: 1-line block ×9, first 2 shown]
	v_fma_f16 v83, v26, v12, -v83
	v_fmac_f16_e32 v84, v79, v12
	v_mul_f16_e32 v87, v76, v51
	v_mul_f16_e32 v90, v27, v49
	;; [unrolled: 1-line block ×9, first 2 shown]
	v_fma_f16 v29, v29, v13, -v85
	v_fmac_f16_e32 v86, v78, v13
	v_fmac_f16_e32 v88, v76, v14
	v_fma_f16 v76, v27, v15, -v89
	v_fma_f16 v27, v34, v10, -v93
	;; [unrolled: 1-line block ×5, first 2 shown]
	v_fmac_f16_e32 v77, v67, v24
	v_add_f16_e32 v31, v25, v83
	v_add_f16_e32 v34, v21, v84
	v_fma_f16 v30, v30, v14, -v87
	v_fmac_f16_e32 v90, v75, v15
	v_fma_f16 v28, v28, v8, -v91
	v_fmac_f16_e32 v72, v73, v8
	;; [unrolled: 2-line block ×3, first 2 shown]
	v_fmac_f16_e32 v70, v81, v10
	v_fmac_f16_e32 v69, v80, v11
	;; [unrolled: 1-line block ×3, first 2 shown]
	v_sub_f16_e32 v74, v83, v66
	v_sub_f16_e32 v75, v84, v77
	v_add_f16_e32 v78, v29, v32
	v_sub_f16_e32 v80, v29, v32
	v_add_f16_e32 v29, v31, v29
	v_add_f16_e32 v31, v34, v86
	;; [unrolled: 1-line block ×5, first 2 shown]
	v_sub_f16_e32 v81, v86, v68
	v_add_f16_e32 v82, v30, v26
	v_sub_f16_e32 v84, v30, v26
	v_sub_f16_e32 v85, v88, v69
	;; [unrolled: 1-line block ×6, first 2 shown]
	v_mul_f16_e32 v34, 0xb853, v75
	v_mul_f16_e32 v86, 0xb853, v74
	v_mul_f16_e32 v97, 0xbb47, v75
	v_mul_f16_e32 v98, 0xbb47, v74
	v_mul_f16_e32 v99, 0xbbeb, v75
	v_mul_f16_e32 v100, 0xbbeb, v74
	v_mul_f16_e32 v101, 0xba0c, v75
	v_mul_f16_e32 v102, 0xba0c, v74
	v_mul_f16_e32 v75, 0xb482, v75
	v_mul_f16_e32 v74, 0xb482, v74
	v_add_f16_e32 v29, v29, v30
	v_add_f16_e32 v30, v31, v88
	;; [unrolled: 1-line block ×7, first 2 shown]
	v_mul_f16_e32 v103, 0xbb47, v81
	v_mul_f16_e32 v104, 0xbb47, v80
	;; [unrolled: 1-line block ×31, first 2 shown]
	v_mul_f16_e64 v128, 0xb482, v95
	v_mul_f16_e64 v129, 0x3853, v96
	;; [unrolled: 1-line block ×7, first 2 shown]
	v_mul_f16_e32 v96, 0xbbeb, v96
	v_mul_f16_e32 v95, 0xbbeb, v95
	v_fma_f16 v31, v67, 0x3abb, -v34
	v_fmamk_f16 v88, v73, 0x3abb, v86
	v_fmac_f16_e32 v34, 0x3abb, v67
	v_fma_f16 v86, v73, 0x3abb, -v86
	v_fma_f16 v135, v67, 0x36a6, -v97
	v_fma_f16 v136, 0x36a6, v73, v98
	v_fmac_f16_e32 v97, 0x36a6, v67
	v_fma_f16 v98, v73, 0x36a6, -v98
	v_fma_f16 v137, v67, 0xb08e, -v99
	v_fma_f16 v138, 0xb08e, v73, v100
	;; [unrolled: 4-line block ×4, first 2 shown]
	v_fmac_f16_e32 v75, 0xbbad, v67
	v_fma_f16 v67, v73, 0xbbad, -v74
	v_add_f16_e32 v29, v29, v76
	v_add_f16_e32 v30, v30, v90
	v_fma_f16 v73, v78, 0x36a6, -v103
	v_fmamk_f16 v74, v79, 0x36a6, v104
	v_fmac_f16_e32 v103, 0x36a6, v78
	v_fma_f16 v104, v79, 0x36a6, -v104
	v_fma_f16 v143, v78, 0xb93d, -v105
	v_fma_f16 v144, 0xb93d, v79, v106
	v_fmac_f16_e32 v105, 0xb93d, v78
	v_fma_f16 v106, v79, 0xb93d, -v106
	v_fma_f16 v145, v78, 0xbbad, -v107
	v_fma_f16 v146, 0xbbad, v79, v108
	v_fmac_f16_e32 v107, 0xbbad, v78
	v_fma_f16 v108, v79, 0xbbad, -v108
	v_fma_f16 v147, v78, 0xb08e, -v109
	v_fma_f16 v148, 0xb08e, v79, v110
	v_fmac_f16_e32 v109, 0xb08e, v78
	v_fma_f16 v110, v79, 0xb08e, -v110
	v_fma_f16 v149, v78, 0x3abb, -v81
	v_fma_f16 v150, 0x3abb, v79, v80
	v_fmac_f16_e32 v81, 0x3abb, v78
	v_fma_f16 v78, v79, 0x3abb, -v80
	v_fma_f16 v79, v82, 0xb08e, -v111
	v_fmamk_f16 v80, v83, 0xb08e, v112
	v_fmac_f16_e32 v111, 0xb08e, v82
	v_fma_f16 v112, v83, 0xb08e, -v112
	v_fma_f16 v151, v82, 0xbbad, -v113
	v_fma_f16 v152, 0xbbad, v83, v114
	v_fmac_f16_e32 v113, 0xbbad, v82
	v_fma_f16 v114, v83, 0xbbad, -v114
	v_fma_f16 v153, v82, 0x36a6, -v115
	v_fma_f16 v154, 0x36a6, v83, v116
	v_fmac_f16_e32 v115, 0x36a6, v82
	v_fma_f16 v116, v83, 0x36a6, -v116
	v_fma_f16 v155, v82, 0x3abb, -v117
	v_fma_f16 v156, 0x3abb, v83, v118
	v_fmac_f16_e32 v117, 0x3abb, v82
	v_fma_f16 v118, v83, 0x3abb, -v118
	v_fma_f16 v157, v82, 0xb93d, -v85
	v_fma_f16 v158, 0xb93d, v83, v84
	v_fmac_f16_e32 v85, 0xb93d, v82
	v_fma_f16 v82, v83, 0xb93d, -v84
	v_fma_f16 v83, v87, 0xb93d, -v119
	v_fmamk_f16 v84, v89, 0xb93d, v120
	v_fmac_f16_e32 v119, 0xb93d, v87
	v_fma_f16 v120, v89, 0xb93d, -v120
	v_fma_f16 v159, v87, 0xb08e, -v121
	v_fma_f16 v160, 0xb08e, v89, v122
	v_fmac_f16_e32 v121, 0xb08e, v87
	v_fma_f16 v122, v89, 0xb08e, -v122
	v_fma_f16 v161, v87, 0x3abb, -v123
	v_fma_f16 v162, 0x3abb, v89, v124
	v_fmac_f16_e32 v123, 0x3abb, v87
	v_fma_f16 v124, v89, 0x3abb, -v124
	v_fma_f16 v163, v87, 0xbbad, -v125
	v_fma_f16 v164, 0xbbad, v89, v126
	v_fmac_f16_e32 v125, 0xbbad, v87
	v_fma_f16 v126, v89, 0xbbad, -v126
	v_fma_f16 v165, v87, 0x36a6, -v92
	v_fma_f16 v166, 0x36a6, v89, v91
	v_fmac_f16_e32 v92, 0x36a6, v87
	v_fma_f16 v87, v89, 0x36a6, -v91
	v_fma_f16 v89, v93, 0xbbad, -v127
	v_fma_f16 v91, 0xbbad, v94, v128
	v_fmac_f16_e32 v127, 0xbbad, v93
	v_fma_f16 v128, v94, 0xbbad, -v128
	v_fma_f16 v167, v93, 0x3abb, -v129
	v_fma_f16 v168, 0x3abb, v94, v130
	v_fmac_f16_e64 v129, 0x3abb, v93
	v_fma_f16 v130, v94, 0x3abb, -v130
	v_fma_f16 v169, v93, 0xb93d, -v131
	v_fma_f16 v170, 0xb93d, v94, v132
	v_fmac_f16_e64 v131, 0xb93d, v93
	v_fma_f16 v132, v94, 0xb93d, -v132
	v_fma_f16 v171, v93, 0x36a6, -v133
	v_fma_f16 v172, 0x36a6, v94, v134
	v_fmac_f16_e64 v133, 0x36a6, v93
	v_fma_f16 v134, v94, 0x36a6, -v134
	v_fma_f16 v173, v93, 0xb08e, -v96
	v_fma_f16 v174, 0xb08e, v94, v95
	v_fmac_f16_e32 v96, 0xb08e, v93
	v_fma_f16 v93, v94, 0xb08e, -v95
	v_add_f16_e32 v31, v25, v31
	v_add_f16_e32 v76, v21, v88
	;; [unrolled: 1-line block ×4, first 2 shown]
	v_add_f16_e64 v88, v25, v135
	v_add_f16_e64 v90, v21, v136
	v_add_f16_e32 v94, v25, v97
	v_add_f16_e32 v95, v21, v98
	v_add_f16_e64 v97, v25, v137
	v_add_f16_e64 v98, v21, v138
	v_add_f16_e32 v99, v25, v99
	v_add_f16_e32 v100, v21, v100
	v_add_f16_e64 v136, v21, v140
	v_add_f16_e32 v102, v21, v102
	v_add_f16_e64 v137, v25, v141
	v_add_f16_e64 v138, v21, v142
	v_add_f16_e32 v21, v21, v67
	v_add_f16_e32 v28, v29, v28
	;; [unrolled: 1-line block ×3, first 2 shown]
	v_add_f16_e64 v135, v25, v139
	v_add_f16_e32 v101, v25, v101
	v_add_f16_e32 v25, v25, v75
	;; [unrolled: 1-line block ×6, first 2 shown]
	v_add_f16_e64 v72, v143, v88
	v_add_f16_e64 v73, v144, v90
	v_add_f16_e32 v74, v105, v94
	v_add_f16_e32 v75, v106, v95
	v_add_f16_e64 v76, v145, v97
	v_add_f16_e64 v86, v146, v98
	v_add_f16_e32 v88, v107, v99
	v_add_f16_e32 v98, v110, v102
	v_add_f16_e64 v99, v149, v137
	v_add_f16_e32 v21, v78, v21
	v_add_f16_e32 v28, v28, v33
	;; [unrolled: 1-line block ×4, first 2 shown]
	v_add_f16_e64 v94, v147, v135
	v_add_f16_e64 v95, v148, v136
	v_add_f16_e32 v97, v109, v101
	v_add_f16_e64 v100, v150, v138
	v_add_f16_e32 v25, v81, v25
	v_add_f16_e32 v30, v79, v30
	;; [unrolled: 1-line block ×5, first 2 shown]
	v_add_f16_e64 v67, v151, v72
	v_add_f16_e64 v71, v152, v73
	v_add_f16_e32 v72, v113, v74
	v_add_f16_e32 v73, v114, v75
	v_add_f16_e64 v74, v153, v76
	v_add_f16_e64 v75, v154, v86
	v_add_f16_e32 v76, v115, v88
	v_add_f16_e32 v86, v118, v98
	v_add_f16_e64 v88, v157, v99
	v_add_f16_e32 v21, v82, v21
	v_add_f16_e32 v27, v28, v27
	;; [unrolled: 1-line block ×4, first 2 shown]
	v_add_f16_e64 v79, v155, v94
	v_add_f16_e64 v80, v156, v95
	v_add_f16_e32 v81, v117, v97
	v_add_f16_e64 v90, v158, v100
	v_add_f16_e32 v25, v85, v25
	v_add_f16_e32 v29, v83, v30
	;; [unrolled: 1-line block ×5, first 2 shown]
	v_add_f16_e64 v34, v159, v67
	v_add_f16_e64 v67, v160, v71
	v_add_f16_e32 v83, v126, v86
	v_add_f16_e64 v84, v165, v88
	v_add_f16_e32 v86, v87, v21
	v_add_f16_e32 v87, v27, v26
	;; [unrolled: 1-line block ×5, first 2 shown]
	v_add_f16_e64 v72, v161, v74
	v_add_f16_e64 v73, v162, v75
	v_add_f16_e32 v82, v123, v76
	v_add_f16_e32 v78, v124, v78
	v_add_f16_e64 v79, v163, v79
	v_add_f16_e64 v80, v164, v80
	v_add_f16_e32 v81, v125, v81
	v_add_f16_e64 v85, v166, v90
	v_add_f16_e32 v25, v92, v25
	;; [unrolled: 2-line block ×3, first 2 shown]
	v_add_f16_e32 v68, v88, v68
	v_add_f16_e32 v26, v89, v29
	;; [unrolled: 1-line block ×4, first 2 shown]
	v_add_f16_e64 v69, v128, v33
	v_add_f16_e64 v29, v167, v34
	;; [unrolled: 1-line block ×14, first 2 shown]
	v_add_f16_e32 v33, v96, v25
	v_add_f16_e32 v25, v67, v66
	;; [unrolled: 1-line block ×4, first 2 shown]
	s_and_saveexec_b32 s1, s0
	s_cbranch_execz .LBB0_11
; %bb.10:
	s_delay_alu instid0(VALU_DEP_2)
	v_perm_b32 v66, v67, v25, 0x5040100
	v_perm_b32 v68, v76, v26, 0x5040100
	v_perm_b32 v79, v75, v29, 0x5040100
	v_perm_b32 v80, v74, v30, 0x5040100
	v_add_nc_u32_e32 v81, 0x400, v35
	v_add_nc_u32_e32 v82, 0xa00, v35
	ds_store_2addr_b32 v35, v66, v68 offset1:170
	v_perm_b32 v66, v73, v31, 0x5040100
	v_perm_b32 v68, v78, v32, 0x5040100
	;; [unrolled: 1-line block ×4, first 2 shown]
	v_add_nc_u32_e32 v85, 0xf00, v35
	v_perm_b32 v86, v71, v27, 0x5040100
	v_perm_b32 v87, v70, v28, 0x5040100
	v_add_nc_u32_e32 v88, 0x1400, v35
	v_perm_b32 v89, v69, v21, 0x5040100
	ds_store_2addr_b32 v81, v79, v80 offset0:84 offset1:254
	ds_store_2addr_b32 v82, v66, v68 offset0:40 offset1:210
	;; [unrolled: 1-line block ×4, first 2 shown]
	ds_store_b32 v35, v89 offset:6800
.LBB0_11:
	s_wait_alu 0xfffe
	s_or_b32 exec_lo, exec_lo, s1
	global_wb scope:SCOPE_SE
	s_wait_dscnt 0x0
	s_barrier_signal -1
	s_barrier_wait -1
	global_inv scope:SCOPE_SE
	s_and_saveexec_b32 s1, vcc_lo
	s_cbranch_execz .LBB0_13
; %bb.12:
	global_load_b32 v66, v35, s[12:13] offset:7480
	s_add_nc_u64 s[2:3], s[12:13], 0x1d38
	s_clause 0xf
	global_load_b32 v68, v35, s[2:3] offset:440
	global_load_b32 v95, v35, s[2:3] offset:880
	;; [unrolled: 1-line block ×16, first 2 shown]
	ds_load_b32 v79, v35
	v_add_nc_u32_e32 v110, 0x400, v35
	v_add_nc_u32_e32 v111, 0x800, v35
	;; [unrolled: 1-line block ×6, first 2 shown]
	s_wait_dscnt 0x0
	v_lshrrev_b32_e32 v80, 16, v79
	s_wait_loadcnt 0xf
	v_lshrrev_b32_e32 v116, 16, v68
	s_wait_loadcnt 0xe
	;; [unrolled: 2-line block ×12, first 2 shown]
	v_lshrrev_b32_e32 v127, 16, v105
	v_lshrrev_b32_e32 v81, 16, v66
	s_wait_loadcnt 0x3
	v_lshrrev_b32_e32 v128, 16, v106
	s_wait_loadcnt 0x2
	;; [unrolled: 2-line block ×4, first 2 shown]
	v_lshrrev_b32_e32 v131, 16, v109
	v_mul_f16_e32 v82, v80, v81
	v_mul_f16_e32 v81, v79, v81
	s_delay_alu instid0(VALU_DEP_2) | instskip(NEXT) | instid1(VALU_DEP_2)
	v_fma_f16 v79, v79, v66, -v82
	v_fmac_f16_e32 v81, v80, v66
	v_add_nc_u32_e32 v66, 0xe00, v35
	s_delay_alu instid0(VALU_DEP_2)
	v_pack_b32_f16 v79, v79, v81
	ds_store_b32 v35, v79
	ds_load_2addr_b32 v[79:80], v35 offset0:110 offset1:220
	ds_load_2addr_b32 v[81:82], v110 offset0:74 offset1:184
	;; [unrolled: 1-line block ×8, first 2 shown]
	s_wait_dscnt 0x7
	v_lshrrev_b32_e32 v132, 16, v79
	v_lshrrev_b32_e32 v134, 16, v80
	s_wait_dscnt 0x6
	v_lshrrev_b32_e32 v136, 16, v81
	v_lshrrev_b32_e32 v138, 16, v82
	;; [unrolled: 3-line block ×5, first 2 shown]
	v_mul_f16_e64 v133, v79, v116
	v_mul_f16_e64 v135, v80, v117
	s_wait_dscnt 0x2
	v_lshrrev_b32_e32 v152, 16, v89
	v_lshrrev_b32_e32 v154, 16, v90
	s_wait_dscnt 0x1
	v_lshrrev_b32_e32 v156, 16, v91
	v_lshrrev_b32_e32 v158, 16, v92
	;; [unrolled: 3-line block ×3, first 2 shown]
	v_mul_f16_e64 v116, v132, v116
	v_mul_f16_e64 v117, v134, v117
	;; [unrolled: 1-line block ×24, first 2 shown]
	v_fmac_f16_e64 v133, v132, v68
	v_fmac_f16_e64 v135, v134, v95
	v_mul_f16_e64 v126, v152, v126
	v_mul_f16_e64 v127, v154, v127
	;; [unrolled: 1-line block ×6, first 2 shown]
	v_fma_f16 v68, v79, v68, -v116
	v_fma_f16 v79, v80, v95, -v117
	v_fmac_f16_e64 v137, v136, v96
	v_fmac_f16_e64 v139, v138, v97
	v_fma_f16 v80, v81, v96, -v118
	v_fma_f16 v81, v82, v97, -v119
	v_fmac_f16_e64 v141, v140, v98
	v_fmac_f16_e64 v143, v142, v99
	;; [unrolled: 4-line block ×5, first 2 shown]
	v_fmac_f16_e64 v157, v156, v106
	v_fmac_f16_e64 v159, v158, v107
	;; [unrolled: 1-line block ×4, first 2 shown]
	v_fma_f16 v88, v89, v104, -v126
	v_fma_f16 v89, v90, v105, -v127
	;; [unrolled: 1-line block ×6, first 2 shown]
	v_pack_b32_f16 v68, v68, v133
	v_pack_b32_f16 v79, v79, v135
	;; [unrolled: 1-line block ×16, first 2 shown]
	ds_store_2addr_b32 v35, v68, v79 offset0:110 offset1:220
	ds_store_2addr_b32 v110, v80, v81 offset0:74 offset1:184
	;; [unrolled: 1-line block ×8, first 2 shown]
.LBB0_13:
	s_wait_alu 0xfffe
	s_or_b32 exec_lo, exec_lo, s1
	global_wb scope:SCOPE_SE
	s_wait_dscnt 0x0
	s_barrier_signal -1
	s_barrier_wait -1
	global_inv scope:SCOPE_SE
	s_and_saveexec_b32 s1, vcc_lo
	s_cbranch_execz .LBB0_15
; %bb.14:
	v_add_nc_u32_e32 v17, 0x200, v35
	v_add_nc_u32_e32 v18, 0x600, v35
	;; [unrolled: 1-line block ×3, first 2 shown]
	ds_load_2addr_b32 v[25:26], v35 offset1:110
	ds_load_2addr_b32 v[29:30], v17 offset0:92 offset1:202
	v_add_nc_u32_e32 v17, 0xc00, v35
	ds_load_2addr_b32 v[31:32], v18 offset0:56 offset1:166
	v_add_nc_u32_e32 v18, 0x1000, v35
	;; [unrolled: 2-line block ×4, first 2 shown]
	ds_load_2addr_b32 v[21:22], v18 offset0:76 offset1:186
	ds_load_2addr_b32 v[19:20], v19 offset0:40 offset1:150
	;; [unrolled: 1-line block ×3, first 2 shown]
	ds_load_b32 v38, v35 offset:7040
	s_wait_dscnt 0x8
	v_lshrrev_b32_e32 v67, 16, v25
	v_lshrrev_b32_e32 v76, 16, v26
	s_wait_dscnt 0x7
	v_lshrrev_b32_e32 v75, 16, v29
	v_lshrrev_b32_e32 v74, 16, v30
	;; [unrolled: 3-line block ×8, first 2 shown]
	s_wait_dscnt 0x0
	v_lshrrev_b32_e32 v43, 16, v38
.LBB0_15:
	s_wait_alu 0xfffe
	s_or_b32 exec_lo, exec_lo, s1
	s_delay_alu instid0(VALU_DEP_1)
	v_sub_f16_e32 v106, v76, v43
	v_add_f16_e32 v117, v43, v76
	v_add_f16_e32 v79, v38, v26
	v_sub_f16_e32 v82, v26, v38
	v_sub_f16_e32 v108, v75, v39
	v_mul_f16_e32 v96, 0xb836, v106
	v_mul_f16_e32 v95, 0xbacd, v117
	v_add_f16_e32 v121, v39, v75
	v_add_f16_e32 v80, v18, v29
	v_sub_f16_e32 v85, v29, v18
	v_fma_f16 v66, v79, 0xbacd, -v96
	v_fmamk_f16 v68, v82, 0xb836, v95
	v_mul_f16_e32 v97, 0x3b29, v108
	v_mul_f16_e32 v101, 0x3722, v121
	v_sub_f16_e32 v103, v74, v40
	v_add_f16_e32 v123, v40, v74
	v_add_f16_e32 v66, v25, v66
	;; [unrolled: 1-line block ×3, first 2 shown]
	v_fma_f16 v83, v80, 0x3722, -v97
	v_fmamk_f16 v86, v85, 0x3b29, v101
	v_add_f16_e32 v81, v17, v30
	v_mul_f16_e32 v98, 0xbbf7, v103
	v_sub_f16_e32 v84, v30, v17
	v_mul_f16_e32 v112, 0x2de8, v123
	v_sub_f16_e32 v104, v73, v41
	v_add_f16_e32 v126, v41, v73
	v_add_f16_e32 v66, v83, v66
	;; [unrolled: 1-line block ×3, first 2 shown]
	v_fma_f16 v87, v81, 0x2de8, -v98
	v_fmamk_f16 v88, v84, 0xbbf7, v112
	v_add_f16_e32 v83, v20, v31
	v_sub_f16_e32 v86, v31, v20
	v_mul_f16_e32 v99, 0x3a62, v104
	v_mul_f16_e32 v105, 0xb8d2, v126
	v_sub_f16_e32 v107, v78, v42
	v_add_f16_e64 v133, v42, v78
	v_add_f16_e32 v66, v87, v66
	v_add_f16_e32 v68, v88, v68
	v_fma_f16 v88, v83, 0xb8d2, -v99
	v_fmamk_f16 v90, v86, 0x3a62, v105
	v_add_f16_e32 v87, v19, v32
	v_mul_f16_e32 v100, 0xb5c8, v107
	v_sub_f16_e32 v89, v32, v19
	v_mul_f16_e64 v132, 0x3b76, v133
	v_sub_f16_e32 v109, v77, v44
	v_add_f16_e64 v137, v44, v77
	v_add_f16_e32 v66, v88, v66
	v_add_f16_e32 v68, v90, v68
	v_fma_f16 v91, v87, 0x3b76, -v100
	v_fma_f16 v92, 0xb5c8, v89, v132
	v_add_f16_e32 v88, v22, v33
	v_sub_f16_e32 v90, v33, v22
	v_mul_f16_e32 v102, 0xb1e1, v109
	v_mul_f16_e64 v134, 0xbbdd, v137
	v_sub_f16_e32 v110, v72, v69
	v_add_f16_e32 v124, v69, v72
	v_add_f16_e32 v66, v91, v66
	v_add_f16_e32 v68, v92, v68
	v_fma_f16 v92, v88, 0xbbdd, -v102
	v_fma_f16 v94, 0xb1e1, v90, v134
	v_add_f16_e32 v91, v21, v34
	v_mul_f16_e64 v131, 0x3964, v110
	v_sub_f16_e32 v93, v34, v21
	v_mul_f16_e64 v136, 0x39e9, v124
	v_sub_f16_e32 v111, v71, v70
	v_add_f16_e32 v118, v70, v71
	v_add_f16_e32 v66, v92, v66
	;; [unrolled: 1-line block ×3, first 2 shown]
	v_fma_f16 v113, v91, 0x39e9, -v131
	v_fma_f16 v114, 0x3964, v93, v136
	v_add_f16_e32 v92, v28, v27
	v_sub_f16_e32 v94, v27, v28
	v_mul_f16_e64 v141, 0xbbb2, v111
	v_mul_f16_e64 v135, 0xb461, v118
	v_add_f16_e32 v66, v113, v66
	v_add_f16_e32 v68, v114, v68
	global_wb scope:SCOPE_SE
	v_fma_f16 v113, v92, 0xb461, -v141
	v_fma_f16 v114, 0xbbb2, v94, v135
	s_barrier_signal -1
	s_barrier_wait -1
	global_inv scope:SCOPE_SE
	v_add_f16_e32 v66, v113, v66
	v_add_f16_e32 v68, v114, v68
	s_and_saveexec_b32 s1, vcc_lo
	s_cbranch_execz .LBB0_17
; %bb.16:
	v_mul_f16_e32 v122, 0xbbdd, v117
	v_mul_f16_e32 v113, 0x3b76, v121
	;; [unrolled: 1-line block ×3, first 2 shown]
	v_mul_f16_e64 v128, 0x35c8, v108
	v_mul_f16_e32 v125, 0xb836, v82
	v_fmamk_f16 v114, v82, 0x31e1, v122
	v_fmamk_f16 v115, v85, 0xb5c8, v113
	v_fma_f16 v130, 0xbbdd, v79, v127
	v_fma_f16 v155, 0x3b76, v80, v128
	v_mul_f16_e64 v139, 0x3b29, v85
	v_add_f16_e32 v116, v67, v114
	v_mul_f16_e32 v114, 0xbacd, v123
	v_add_f16_e64 v130, v25, v130
	v_sub_f16_e32 v95, v95, v125
	v_mul_f16_e64 v140, 0xbacd, v79
	v_add_f16_e32 v116, v115, v116
	v_fmamk_f16 v119, v84, 0x3836, v114
	v_mul_f16_e32 v115, 0x39e9, v126
	v_add_f16_e64 v155, v155, v130
	v_mul_f16_e64 v130, 0x3964, v104
	v_mul_f16_e64 v144, 0xbbf7, v84
	v_add_f16_e32 v119, v119, v116
	v_fmamk_f16 v120, v86, 0xb964, v115
	v_mul_f16_e64 v116, 0xb8d2, v133
	v_add_f16_e32 v95, v67, v95
	v_sub_f16_e64 v101, v101, v139
	v_mul_f16_e64 v142, 0x3722, v80
	v_add_f16_e32 v120, v120, v119
	v_fma_f16 v129, 0x3a62, v89, v116
	v_mul_f16_e64 v119, 0x3722, v137
	v_mul_f16_e64 v145, 0x3a62, v86
	;; [unrolled: 1-line block ×3, first 2 shown]
	v_add_f16_e32 v101, v101, v95
	v_add_f16_e64 v138, v129, v120
	v_fma_f16 v154, 0xbb29, v90, v119
	v_mul_f16_e32 v120, 0xb461, v124
	v_mul_f16_e64 v129, 0xb836, v103
	v_sub_f16_e64 v112, v112, v144
	v_add_f16_e64 v96, v140, v96
	v_add_f16_e64 v138, v154, v138
	v_fma_f16 v154, 0x3bb2, v93, v120
	v_fma_f16 v157, 0xbacd, v81, v129
	v_mul_f16_e64 v143, 0x2de8, v81
	v_mul_f16_e64 v148, 0xb5c8, v89
	v_fma_f16 v140, 0x3722, v88, v139
	v_add_f16_e64 v154, v154, v138
	v_add_f16_e64 v155, v157, v155
	v_fma_f16 v157, 0x39e9, v83, v130
	v_mul_f16_e64 v138, 0xba62, v107
	v_add_f16_e32 v101, v112, v101
	v_sub_f16_e64 v105, v105, v145
	v_mul_f16_e64 v145, 0xbbb2, v110
	v_add_f16_e64 v155, v157, v155
	v_fma_f16 v157, 0xb8d2, v87, v138
	v_add_f16_e32 v96, v25, v96
	v_add_f16_e64 v97, v142, v97
	v_mul_f16_e64 v146, 0xb8d2, v83
	v_mul_f16_e64 v150, 0xb1e1, v90
	v_add_f16_e64 v144, v157, v155
	v_add_f16_e32 v101, v105, v101
	v_sub_f16_e64 v105, v132, v148
	v_add_f16_e32 v96, v97, v96
	v_add_f16_e64 v97, v143, v98
	v_add_f16_e64 v112, v140, v144
	v_fma_f16 v140, 0xb461, v91, v145
	v_mul_f16_e64 v132, 0x3bf7, v111
	v_mul_f16_e64 v147, 0x3b76, v87
	;; [unrolled: 1-line block ×3, first 2 shown]
	v_add_f16_e32 v98, v105, v101
	v_sub_f16_e64 v101, v134, v150
	v_add_f16_e64 v105, v140, v112
	v_add_f16_e32 v96, v97, v96
	v_add_f16_e64 v97, v146, v99
	v_fma_f16 v99, 0x2de8, v92, v132
	v_mul_f16_e64 v140, 0xb8d2, v117
	v_mul_f16_e64 v149, 0xbbdd, v88
	;; [unrolled: 1-line block ×3, first 2 shown]
	v_add_f16_e32 v98, v101, v98
	v_sub_f16_e64 v101, v136, v152
	v_add_f16_e32 v97, v97, v96
	v_add_f16_e64 v100, v147, v100
	v_add_f16_e32 v96, v99, v105
	v_fma_f16 v99, 0x3a62, v82, v140
	v_mul_f16_e64 v134, 0xb461, v121
	v_mul_f16_e64 v151, 0x39e9, v91
	v_add_f16_e32 v98, v101, v98
	v_add_f16_e32 v97, v100, v97
	v_add_f16_e64 v100, v149, v102
	v_sub_f16_e64 v101, v135, v156
	v_add_f16_e32 v99, v67, v99
	v_fma_f16 v102, 0xbbb2, v85, v134
	v_mul_f16_e64 v135, 0x3b76, v123
	v_mul_f16_e64 v153, 0xb461, v92
	v_add_f16_e32 v100, v100, v97
	v_add_f16_e64 v105, v151, v131
	v_add_f16_e32 v97, v101, v98
	v_add_f16_e32 v98, v102, v99
	v_fma_f16 v99, 0x35c8, v84, v135
	v_mul_f16_e64 v136, 0xbacd, v126
	v_add_f16_e32 v100, v105, v100
	v_add_f16_e64 v101, v153, v141
	v_mul_f16_e64 v160, 0xba62, v106
	v_add_f16_e32 v99, v99, v98
	v_fma_f16 v102, 0x3836, v86, v136
	v_mul_f16_e64 v141, 0x2de8, v133
	v_add_f16_e32 v98, v101, v100
	v_fma_f16 v100, 0xb8d2, v79, v160
	;; [unrolled: 3-line block ×7, first 2 shown]
	v_mul_f16_e64 v144, 0x3722, v118
	v_mul_f16_e32 v125, 0x2de8, v118
	v_add_f16_e32 v100, v102, v100
	v_fma_f16 v102, 0xbacd, v83, v151
	v_mul_f16_e64 v152, 0x3bf7, v107
	v_add_f16_e32 v99, v101, v99
	v_fma_f16 v101, 0xbb29, v94, v144
	v_mul_f16_e64 v172, 0xb461, v117
	v_fma_f16 v158, 0xbbf7, v94, v125
	v_add_f16_e32 v100, v102, v100
	v_fma_f16 v102, 0x2de8, v87, v152
	v_mul_f16_e64 v157, 0xb964, v109
	v_add_f16_e32 v99, v101, v99
	v_fma_f16 v101, 0x3bb2, v82, v172
	v_mul_f16_e64 v173, 0xbacd, v121
	v_add_f16_e64 v95, v158, v154
	v_add_f16_e32 v100, v102, v100
	v_fma_f16 v102, 0x39e9, v88, v157
	v_mul_f16_e64 v158, 0xb1e1, v110
	v_add_f16_e32 v101, v67, v101
	v_fma_f16 v105, 0xb836, v85, v173
	v_mul_f16_e64 v174, 0x39e9, v123
	;; [unrolled: 3-line block ×19, first 2 shown]
	v_add_f16_e64 v105, v131, v105
	v_fma_f16 v131, 0xbbb2, v84, v169
	v_mul_f16_e64 v170, 0x3b76, v126
	v_add_f16_e32 v102, v112, v102
	v_fma_f16 v112, 0xb8d2, v92, v155
	v_mul_f16_e64 v190, 0xbbf7, v106
	v_add_f16_e64 v105, v131, v105
	v_fma_f16 v131, 0xb5c8, v86, v170
	v_mul_f16_e64 v181, 0x3722, v133
	v_add_f16_e32 v102, v112, v102
	v_fma_f16 v112, 0x2de8, v79, v190
	v_mul_f16_e64 v191, 0xb1e1, v108
	;; [unrolled: 6-line block ×3, first 2 shown]
	v_add_f16_e64 v105, v131, v105
	v_fma_f16 v131, 0x3836, v90, v182
	v_mul_f16_e64 v185, 0xb8d2, v124
	v_add_f16_e64 v112, v148, v112
	v_fma_f16 v148, 0xb461, v81, v192
	v_mul_f16_e64 v196, 0x35c8, v104
	;; [unrolled: 3-line block ×37, first 2 shown]
	v_add_f16_e64 v117, v209, v117
	v_fma_f16 v211, 0xbacd, v87, v198
	v_mul_f16_e32 v121, 0x3bb2, v109
	v_add_f16_e64 v210, v67, v210
	v_fma_f16 v221, 0x3964, v85, v207
	v_mul_f16_e64 v209, 0x3722, v123
	v_add_f16_e64 v211, v211, v117
	v_fma_f16 v222, 0xb461, v88, v121
	v_mul_f16_e32 v123, 0x3b29, v110
	v_add_f16_e64 v221, v221, v210
	v_fma_f16 v223, 0x3b29, v84, v209
	v_mul_f16_e64 v210, 0x2de8, v126
	v_mul_f16_e32 v117, 0x3b76, v118
	v_add_f16_e64 v222, v222, v211
	v_fma_f16 v224, 0x3722, v91, v123
	v_add_f16_e64 v221, v223, v221
	v_fma_f16 v223, 0x3bf7, v86, v210
	v_mul_f16_e64 v211, 0xb461, v133
	v_mul_f16_e32 v126, 0x35c8, v111
	v_fma_f16 v133, 0xb5c8, v94, v117
	v_add_f16_e64 v222, v224, v222
	v_add_f16_e64 v221, v223, v221
	v_fma_f16 v223, 0x3bb2, v89, v211
	v_mul_f16_e64 v137, 0xb8d2, v137
	v_fma_f16 v224, 0x3b76, v92, v126
	v_mul_f16_e64 v225, 0xb5c8, v106
	v_add_f16_e32 v26, v26, v25
	v_add_f16_e64 v106, v133, v220
	v_add_f16_e64 v220, v223, v221
	v_fma_f16 v221, 0x3a62, v90, v137
	v_add_f16_e64 v133, v224, v222
	v_fma_f16 v222, 0x3b76, v79, v225
	v_mul_f16_e32 v108, 0xb964, v108
	v_add_f16_e32 v26, v29, v26
	v_add_f16_e32 v29, v76, v67
	v_add_f16_e64 v220, v221, v220
	v_add_f16_e64 v221, v25, v222
	v_fma_f16 v222, 0x39e9, v80, v108
	v_mul_f16_e32 v76, 0xbb29, v103
	v_add_f16_e32 v26, v30, v26
	v_add_f16_e32 v29, v75, v29
	v_mul_f16_e32 v75, 0xbbf7, v104
	v_add_f16_e64 v221, v222, v221
	v_fmamk_f16 v30, v81, 0x3722, v76
	v_add_f16_e32 v26, v31, v26
	v_add_f16_e32 v29, v74, v29
	v_fmamk_f16 v31, v83, 0x2de8, v75
	v_mul_f16_e32 v74, 0xbbb2, v107
	v_add_f16_e64 v30, v30, v221
	v_add_f16_e32 v26, v32, v26
	v_add_f16_e32 v29, v73, v29
	v_fmac_f16_e32 v122, 0xb1e1, v82
	v_fmac_f16_e32 v113, 0x35c8, v85
	v_add_f16_e32 v30, v31, v30
	v_fmamk_f16 v31, v87, 0xb461, v74
	v_add_f16_e32 v26, v33, v26
	v_add_f16_e32 v29, v78, v29
	v_mul_f16_e32 v33, 0xba62, v109
	v_fmac_f16_e32 v114, 0xb836, v84
	v_add_f16_e32 v30, v31, v30
	v_add_f16_e32 v26, v34, v26
	;; [unrolled: 1-line block ×3, first 2 shown]
	v_fmamk_f16 v31, v88, 0xb8d2, v33
	v_mul_f16_e32 v34, 0xb836, v110
	v_fmac_f16_e32 v115, 0x3964, v86
	v_add_f16_e32 v26, v27, v26
	v_add_f16_e32 v27, v72, v29
	;; [unrolled: 1-line block ×3, first 2 shown]
	v_fmamk_f16 v30, v91, 0xbacd, v34
	v_mul_f16_e32 v31, 0xb1e1, v111
	v_add_f16_e32 v26, v28, v26
	v_add_f16_e32 v27, v71, v27
	v_fmac_f16_e32 v116, 0xba62, v89
	v_add_f16_e32 v28, v30, v29
	v_fmamk_f16 v29, v92, 0xbbdd, v31
	v_add_f16_e32 v21, v21, v26
	v_add_f16_e32 v26, v70, v27
	;; [unrolled: 1-line block ×3, first 2 shown]
	v_fmac_f16_e32 v119, 0x3b29, v90
	v_add_f16_e32 v28, v29, v28
	v_fma_f16 v29, v79, 0xbbdd, -v127
	v_add_f16_e32 v21, v22, v21
	v_add_f16_e32 v22, v69, v26
	v_add_f16_e32 v26, v113, v27
	v_fmac_f16_e64 v140, 0xba62, v82
	v_add_f16_e32 v27, v25, v29
	v_fma_f16 v29, v80, 0x3b76, -v128
	v_add_f16_e32 v19, v19, v21
	v_add_f16_e32 v21, v44, v22
	v_add_f16_e32 v22, v114, v26
	v_fmac_f16_e64 v134, 0x3bb2, v85
	v_add_f16_e32 v26, v29, v27
	v_fma_f16 v27, v81, 0xbacd, -v129
	v_add_f16_e32 v19, v20, v19
	v_add_f16_e32 v20, v42, v21
	v_add_f16_e32 v21, v115, v22
	v_fmac_f16_e64 v172, 0xbbb2, v82
	v_add_f16_e32 v22, v27, v26
	v_fma_f16 v26, v83, 0x39e9, -v130
	v_add_f16_e32 v17, v17, v19
	v_add_f16_e32 v19, v41, v20
	;; [unrolled: 1-line block ×3, first 2 shown]
	v_fma_f16 v27, v80, 0xb461, -v161
	v_add_f16_e32 v21, v26, v22
	v_fma_f16 v22, v87, 0xb8d2, -v138
	v_add_f16_e32 v17, v18, v17
	v_add_f16_e32 v18, v40, v19
	;; [unrolled: 1-line block ×3, first 2 shown]
	v_add_f16_e64 v26, v67, v140
	v_add_f16_e32 v20, v22, v21
	v_fma_f16 v21, v88, 0x3722, -v139
	v_fma_f16 v22, v79, 0xb8d2, -v160
	v_fmac_f16_e64 v173, 0x3836, v85
	v_fmac_f16_e64 v174, 0x3964, v84
	;; [unrolled: 1-line block ×3, first 2 shown]
	v_add_f16_e32 v20, v21, v20
	v_fma_f16 v21, v91, 0xb461, -v145
	v_add_f16_e32 v22, v25, v22
	v_fmac_f16_e64 v183, 0xb1e1, v89
	v_fmac_f16_e64 v184, 0x3bf7, v90
	;; [unrolled: 1-line block ×3, first 2 shown]
	v_add_f16_e32 v20, v21, v20
	v_fma_f16 v21, v92, 0x2de8, -v132
	v_add_f16_e32 v22, v27, v22
	v_add_f16_e64 v27, v67, v172
	v_fma_f16 v29, v79, 0xb461, -v167
	v_fmac_f16_e64 v186, 0xbbf7, v82
	v_add_f16_e32 v20, v21, v20
	v_add_f16_e64 v21, v134, v26
	v_fma_f16 v26, v81, 0x3b76, -v150
	v_add_f16_e64 v27, v173, v27
	v_add_f16_e64 v30, v67, v186
	v_fmac_f16_e64 v168, 0xb1e1, v85
	v_add_f16_e32 v17, v38, v17
	v_add_f16_e32 v22, v26, v22
	v_fma_f16 v26, v83, 0xbacd, -v151
	v_add_f16_e64 v27, v174, v27
	v_fma_f16 v38, v79, 0x2de8, -v190
	v_add_f16_e64 v30, v168, v30
	v_fmac_f16_e64 v169, 0x3bb2, v84
	v_add_f16_e32 v22, v26, v22
	v_fma_f16 v26, v87, 0x2de8, -v152
	v_add_f16_e64 v27, v175, v27
	v_add_f16_e32 v18, v39, v18
	v_add_f16_e32 v38, v25, v38
	v_fma_f16 v39, v80, 0xbbdd, -v191
	v_add_f16_e32 v22, v26, v22
	v_fma_f16 v26, v88, 0x39e9, -v157
	v_add_f16_e64 v27, v183, v27
	v_add_f16_e64 v30, v169, v30
	v_fmac_f16_e64 v170, 0x35c8, v86
	v_add_f16_e32 v38, v39, v38
	v_add_f16_e32 v22, v26, v22
	v_fma_f16 v26, v91, 0xbbdd, -v158
	v_add_f16_e64 v27, v184, v27
	v_fma_f16 v39, v81, 0xb461, -v192
	v_add_f16_e64 v30, v170, v30
	v_fmac_f16_e64 v181, 0xbb29, v89
	v_add_f16_e32 v22, v26, v22
	v_fma_f16 v26, v92, 0x3722, -v159
	v_add_f16_e32 v38, v39, v38
	v_fma_f16 v39, v83, 0x3b76, -v196
	v_add_f16_e64 v30, v181, v30
	v_fmac_f16_e64 v182, 0xb836, v90
	v_add_f16_e32 v22, v26, v22
	v_add_f16_e64 v26, v165, v27
	v_add_f16_e32 v27, v25, v29
	v_fma_f16 v29, v80, 0xbacd, -v156
	v_add_f16_e32 v38, v39, v38
	v_fma_f16 v39, v87, 0x3722, -v197
	v_add_f16_e64 v30, v182, v30
	v_fmac_f16_e64 v185, 0x3a62, v93
	v_add_f16_e32 v27, v29, v27
	v_fma_f16 v29, v81, 0x39e9, -v146
	v_add_f16_e32 v38, v39, v38
	v_fma_f16 v39, v88, 0xbacd, -v204
	v_add_f16_e64 v30, v185, v30
	v_fmac_f16_e64 v180, 0x3964, v94
	v_add_f16_e32 v27, v29, v27
	v_fma_f16 v29, v83, 0x3722, -v147
	v_add_f16_e32 v38, v39, v38
	v_fma_f16 v39, v91, 0xb8d2, -v206
	v_fmac_f16_e64 v176, 0xbb29, v82
	v_fmac_f16_e64 v162, 0xba62, v85
	v_add_f16_e32 v27, v29, v27
	v_fma_f16 v29, v87, 0xbbdd, -v149
	v_add_f16_e32 v38, v39, v38
	v_fma_f16 v39, v92, 0x39e9, -v187
	v_add_f16_e64 v40, v67, v176
	v_fma_f16 v41, v80, 0xb8d2, -v205
	v_add_f16_e32 v27, v29, v27
	v_fma_f16 v29, v88, 0x2de8, -v153
	v_fmac_f16_e64 v213, 0xb964, v82
	v_add_f16_e32 v38, v39, v38
	v_add_f16_e64 v39, v162, v40
	v_fma_f16 v40, v81, 0xbbdd, -v193
	v_add_f16_e32 v27, v29, v27
	v_fma_f16 v29, v91, 0x3b76, -v154
	v_fmac_f16_e64 v214, 0xbbf7, v85
	v_fmac_f16_e64 v215, 0xba62, v84
	;; [unrolled: 1-line block ×4, first 2 shown]
	v_add_f16_e32 v27, v29, v27
	v_fma_f16 v29, v92, 0xb8d2, -v155
	v_fmac_f16_e64 v218, 0x3bb2, v90
	v_fmac_f16_e64 v208, 0x3b29, v93
	v_fma_f16 v42, v79, 0x39e9, -v212
	v_fmac_f16_e64 v219, 0xb5c8, v82
	v_add_f16_e32 v27, v29, v27
	v_add_f16_e64 v29, v180, v30
	v_fma_f16 v30, v79, 0x3722, -v203
	v_fma_f16 v44, v79, 0x3b76, -v225
	v_add_f16_e32 v18, v43, v18
	v_add_f16_e64 v43, v67, v219
	v_fmac_f16_e64 v207, 0xb964, v85
	v_add_f16_e32 v30, v25, v30
	v_fmac_f16_e64 v135, 0xb5c8, v84
	v_fmac_f16_e64 v163, 0x31e1, v84
	;; [unrolled: 1-line block ×3, first 2 shown]
	v_add_f16_e64 v43, v207, v43
	v_add_f16_e32 v30, v41, v30
	v_add_f16_e64 v41, v67, v213
	v_add_f16_e64 v21, v135, v21
	v_fmac_f16_e64 v136, 0xb836, v86
	v_add_f16_e64 v39, v163, v39
	v_add_f16_e32 v30, v40, v30
	v_fma_f16 v40, v83, 0xb461, -v194
	v_add_f16_e64 v41, v214, v41
	v_fmac_f16_e64 v164, 0x3bb2, v86
	v_add_f16_e64 v43, v209, v43
	v_fmac_f16_e64 v210, 0xbbf7, v86
	v_add_f16_e32 v30, v40, v30
	v_fma_f16 v40, v87, 0x39e9, -v195
	v_add_f16_e64 v41, v215, v41
	v_mul_f16_e32 v124, 0xbacd, v124
	v_add_f16_e64 v21, v136, v21
	v_fmac_f16_e64 v141, 0x3bf7, v89
	v_add_f16_e32 v30, v40, v30
	v_fma_f16 v40, v88, 0x3b76, -v200
	v_add_f16_e64 v41, v216, v41
	v_add_f16_e64 v39, v164, v39
	v_fmac_f16_e64 v177, 0x3964, v89
	v_add_f16_e64 v43, v210, v43
	v_add_f16_e32 v30, v40, v30
	v_fma_f16 v40, v91, 0x2de8, -v201
	v_add_f16_e64 v41, v217, v41
	v_fmac_f16_e64 v211, 0xbbb2, v89
	v_fmamk_f16 v103, v93, 0x3836, v124
	v_mul_f16_e32 v32, 0xbbdd, v118
	v_add_f16_e32 v30, v40, v30
	v_fma_f16 v40, v92, 0xbacd, -v202
	v_add_f16_e64 v41, v218, v41
	v_add_f16_e64 v21, v141, v21
	v_fmac_f16_e64 v142, 0xb964, v90
	v_add_f16_e64 v39, v177, v39
	v_add_f16_e32 v30, v40, v30
	v_add_f16_e64 v40, v208, v41
	v_add_f16_e32 v41, v25, v42
	v_fma_f16 v42, v80, 0x2de8, -v199
	v_add_f16_e32 v25, v25, v44
	v_fma_f16 v44, v80, 0x39e9, -v108
	v_fmac_f16_e64 v178, 0xb5c8, v90
	v_add_f16_e64 v43, v211, v43
	v_add_f16_e32 v41, v42, v41
	v_fma_f16 v42, v81, 0xb8d2, -v188
	v_add_f16_e32 v25, v44, v25
	v_fma_f16 v44, v81, 0x3722, -v76
	v_fmac_f16_e64 v137, 0xba62, v90
	v_fma_f16 v33, v88, 0xb8d2, -v33
	v_add_f16_e32 v41, v42, v41
	v_fma_f16 v42, v83, 0xbbdd, -v189
	v_add_f16_e32 v25, v44, v25
	v_fma_f16 v44, v83, 0x2de8, -v75
	v_add_f16_e64 v103, v103, v220
	v_fmamk_f16 v73, v94, 0x31e1, v32
	v_add_f16_e32 v41, v42, v41
	v_fma_f16 v42, v87, 0xbacd, -v198
	v_add_f16_e32 v25, v44, v25
	v_fma_f16 v44, v87, 0xb461, -v74
	v_fmac_f16_e32 v120, 0xbbb2, v93
	v_add_f16_e64 v21, v142, v21
	v_add_f16_e32 v41, v42, v41
	v_fma_f16 v42, v88, 0xb461, -v121
	v_add_f16_e32 v25, v44, v25
	v_fmac_f16_e64 v143, 0xb1e1, v93
	v_add_f16_e64 v39, v178, v39
	v_fmac_f16_e64 v179, 0xbbf7, v93
	v_add_f16_e32 v41, v42, v41
	v_fma_f16 v42, v91, 0x3722, -v123
	v_add_f16_e64 v43, v137, v43
	v_fmac_f16_e32 v124, 0xb836, v93
	v_add_f16_e32 v25, v33, v25
	v_fma_f16 v33, v91, 0xbacd, -v34
	v_add_f16_e32 v73, v73, v103
	v_add_f16_e32 v19, v120, v19
	v_fmac_f16_e32 v125, 0x3bf7, v94
	v_and_b32_e32 v37, 0xffff, v37
	v_add_f16_e64 v21, v143, v21
	v_fmac_f16_e64 v144, 0x3b29, v94
	v_fmac_f16_e64 v166, 0xba62, v94
	v_fmac_f16_e32 v117, 0x35c8, v94
	v_add_f16_e32 v41, v42, v41
	v_fma_f16 v42, v92, 0x3b76, -v126
	v_add_f16_e64 v39, v179, v39
	v_fmac_f16_e64 v171, 0xb836, v94
	v_add_f16_e32 v43, v124, v43
	v_fmac_f16_e32 v32, 0xb1e1, v94
	v_add_f16_e32 v25, v33, v25
	v_fma_f16 v31, v92, 0xbbdd, -v31
	v_add_f16_e32 v19, v125, v19
	v_lshlrev_b32_e32 v33, 2, v37
	v_pack_b32_f16 v28, v28, v73
	v_pack_b32_f16 v17, v17, v18
	v_add_f16_e64 v21, v144, v21
	v_pack_b32_f16 v18, v148, v131
	v_pack_b32_f16 v37, v133, v106
	v_add_f16_e64 v26, v166, v26
	v_add_f16_e32 v34, v117, v40
	v_add_f16_e32 v40, v42, v41
	v_pack_b32_f16 v41, v102, v101
	v_pack_b32_f16 v42, v112, v105
	v_add_f16_e64 v39, v171, v39
	v_add_f16_e32 v32, v32, v43
	v_pack_b32_f16 v43, v98, v97
	v_pack_b32_f16 v44, v100, v99
	v_add_f16_e32 v25, v31, v25
	ds_store_2addr_b32 v33, v17, v28 offset1:1
	ds_store_2addr_b32 v33, v37, v18 offset0:2 offset1:3
	ds_store_2addr_b32 v33, v42, v41 offset0:4 offset1:5
	;; [unrolled: 1-line block ×3, first 2 shown]
	v_pack_b32_f16 v17, v20, v19
	v_pack_b32_f16 v18, v96, v95
	;; [unrolled: 1-line block ×3, first 2 shown]
	v_perm_b32 v20, v68, v66, 0x5040100
	v_pack_b32_f16 v21, v38, v29
	v_pack_b32_f16 v22, v27, v26
	v_pack_b32_f16 v26, v40, v34
	v_pack_b32_f16 v27, v30, v39
	v_pack_b32_f16 v25, v25, v32
	ds_store_2addr_b32 v33, v18, v17 offset0:8 offset1:9
	ds_store_2addr_b32 v33, v20, v19 offset0:10 offset1:11
	;; [unrolled: 1-line block ×4, first 2 shown]
	ds_store_b32 v33, v25 offset:64
.LBB0_17:
	s_wait_alu 0xfffe
	s_or_b32 exec_lo, exec_lo, s1
	v_add_nc_u32_e32 v19, 0x500, v35
	global_wb scope:SCOPE_SE
	s_wait_dscnt 0x0
	s_barrier_signal -1
	s_barrier_wait -1
	global_inv scope:SCOPE_SE
	ds_load_2addr_b32 v[17:18], v35 offset1:187
	ds_load_2addr_b32 v[19:20], v19 offset0:54 offset1:241
	v_add_nc_u32_e32 v21, 0xb00, v35
	v_add_nc_u32_e32 v25, 0x1100, v35
	;; [unrolled: 1-line block ×3, first 2 shown]
	ds_load_2addr_b32 v[21:22], v21 offset0:44 offset1:231
	ds_load_2addr_b32 v[25:26], v25 offset0:34 offset1:221
	;; [unrolled: 1-line block ×3, first 2 shown]
	global_wb scope:SCOPE_SE
	s_wait_dscnt 0x0
	s_barrier_signal -1
	s_barrier_wait -1
	global_inv scope:SCOPE_SE
	v_lshrrev_b32_e32 v29, 16, v18
	v_mul_f16_e32 v30, v65, v18
	v_lshrrev_b32_e32 v32, 16, v19
	v_lshrrev_b32_e32 v33, 16, v20
	v_mul_f16_e32 v43, v64, v20
	v_lshrrev_b32_e32 v34, 16, v21
	v_lshrrev_b32_e32 v37, 16, v22
	v_lshrrev_b32_e32 v38, 16, v25
	v_mul_f16_e32 v42, v65, v29
	v_fma_f16 v29, v4, v29, -v30
	v_mul_f16_e32 v30, v63, v19
	v_mul_f16_e32 v63, v63, v32
	;; [unrolled: 1-line block ×3, first 2 shown]
	v_lshrrev_b32_e32 v39, 16, v26
	v_fmac_f16_e32 v42, v4, v18
	v_fma_f16 v4, v5, v32, -v30
	v_mul_f16_e32 v18, v62, v34
	v_fmac_f16_e32 v63, v5, v19
	v_fmac_f16_e32 v64, v6, v20
	v_fma_f16 v5, v6, v33, -v43
	v_mul_f16_e32 v6, v61, v37
	v_mul_f16_e32 v19, v61, v22
	;; [unrolled: 1-line block ×3, first 2 shown]
	v_lshrrev_b32_e32 v40, 16, v27
	v_mul_f16_e32 v44, v62, v21
	v_fmac_f16_e32 v18, v7, v21
	v_fmac_f16_e32 v6, v0, v22
	v_mul_f16_e32 v21, v60, v25
	v_mul_f16_e32 v22, v59, v39
	v_fma_f16 v0, v0, v37, -v19
	v_fmac_f16_e32 v20, v1, v25
	v_mul_f16_e32 v19, v58, v27
	v_fma_f16 v1, v1, v38, -v21
	v_fmac_f16_e32 v22, v2, v26
	v_mul_f16_e32 v21, v59, v26
	v_add_f16_e32 v25, v18, v20
	v_fma_f16 v19, v3, v40, -v19
	v_mul_f16_e32 v26, v58, v40
	v_fma_f16 v7, v7, v34, -v44
	v_add_f16_e32 v32, v17, v63
	v_fma_f16 v33, -0.5, v25, v17
	v_sub_f16_e32 v25, v4, v19
	v_fmac_f16_e32 v26, v3, v27
	v_lshrrev_b32_e32 v31, 16, v17
	v_fma_f16 v2, v2, v39, -v21
	v_add_f16_e32 v3, v32, v18
	v_fmamk_f16 v21, v25, 0xbb9c, v33
	v_sub_f16_e32 v27, v7, v1
	v_sub_f16_e32 v32, v63, v18
	;; [unrolled: 1-line block ×3, first 2 shown]
	v_add_f16_e32 v37, v63, v26
	v_fmac_f16_e32 v33, 0x3b9c, v25
	v_lshrrev_b32_e32 v41, 16, v28
	v_fmac_f16_e32 v21, 0xb8b4, v27
	v_add_f16_e32 v32, v32, v34
	v_fmac_f16_e32 v17, -0.5, v37
	v_fmac_f16_e32 v33, 0x38b4, v27
	v_add_f16_e32 v39, v31, v4
	v_mul_f16_e32 v30, v57, v41
	v_add_f16_e32 v3, v3, v20
	v_fmac_f16_e32 v21, 0x34f2, v32
	v_fmamk_f16 v34, v27, 0x3b9c, v17
	v_sub_f16_e32 v37, v18, v63
	v_sub_f16_e32 v38, v20, v26
	v_add_f16_e32 v40, v7, v1
	v_fmac_f16_e32 v17, 0xbb9c, v27
	v_add_f16_e32 v27, v39, v7
	v_fmac_f16_e32 v33, 0x34f2, v32
	;; [unrolled: 2-line block ×3, first 2 shown]
	v_mul_f16_e32 v28, v57, v28
	v_add_f16_e32 v3, v3, v26
	v_fmac_f16_e32 v34, 0xb8b4, v25
	v_add_f16_e32 v37, v37, v38
	v_fma_f16 v38, -0.5, v40, v31
	v_sub_f16_e32 v26, v63, v26
	v_fmac_f16_e32 v17, 0x38b4, v25
	v_add_f16_e32 v25, v27, v1
	v_sub_f16_e32 v18, v18, v20
	v_sub_f16_e32 v20, v4, v7
	;; [unrolled: 1-line block ×3, first 2 shown]
	v_fmac_f16_e32 v31, -0.5, v32
	v_sub_f16_e32 v4, v7, v4
	v_sub_f16_e32 v1, v1, v19
	v_add_f16_e32 v7, v42, v64
	v_fma_f16 v28, v46, v41, -v28
	v_fmac_f16_e32 v34, 0x34f2, v37
	v_fmamk_f16 v27, v26, 0x3b9c, v38
	v_fmac_f16_e32 v17, 0x34f2, v37
	v_fmac_f16_e32 v38, 0xbb9c, v26
	v_fmamk_f16 v37, v18, 0xbb9c, v31
	v_add_f16_e32 v1, v4, v1
	v_fmac_f16_e32 v31, 0x3b9c, v18
	v_add_f16_e32 v4, v7, v6
	v_add_f16_e32 v7, v6, v22
	;; [unrolled: 1-line block ×3, first 2 shown]
	v_fmac_f16_e32 v27, 0x38b4, v18
	v_add_f16_e32 v20, v20, v39
	v_fmac_f16_e32 v38, 0xb8b4, v18
	v_fmac_f16_e32 v37, 0x38b4, v26
	;; [unrolled: 1-line block ×3, first 2 shown]
	v_fma_f16 v18, -0.5, v7, v42
	v_add_f16_e32 v7, v64, v30
	v_sub_f16_e32 v19, v5, v28
	v_fmac_f16_e32 v27, 0x34f2, v20
	v_fmac_f16_e32 v38, 0x34f2, v20
	;; [unrolled: 1-line block ×4, first 2 shown]
	v_sub_f16_e32 v1, v0, v2
	v_fmac_f16_e32 v42, -0.5, v7
	v_fmamk_f16 v20, v19, 0xbb9c, v18
	v_sub_f16_e32 v7, v64, v6
	v_sub_f16_e32 v25, v30, v22
	v_fmac_f16_e32 v18, 0x3b9c, v19
	v_fmamk_f16 v26, v1, 0x3b9c, v42
	v_fmac_f16_e32 v20, 0xb8b4, v1
	v_sub_f16_e32 v39, v6, v64
	v_add_f16_e32 v7, v7, v25
	v_fmac_f16_e32 v18, 0x38b4, v1
	v_sub_f16_e32 v40, v22, v30
	v_fmac_f16_e32 v42, 0xbb9c, v1
	v_add_f16_e32 v1, v0, v2
	v_add_f16_e32 v4, v4, v22
	v_fmac_f16_e32 v20, 0x34f2, v7
	v_fmac_f16_e32 v18, 0x34f2, v7
	v_add_f16_e32 v7, v5, v28
	v_fmac_f16_e32 v26, 0xb8b4, v19
	v_add_f16_e32 v25, v39, v40
	v_fmac_f16_e32 v42, 0x38b4, v19
	v_fma_f16 v19, -0.5, v1, v29
	v_sub_f16_e32 v1, v64, v30
	v_add_f16_e32 v4, v4, v30
	v_add_f16_e32 v30, v29, v5
	v_sub_f16_e32 v6, v6, v22
	v_fmac_f16_e32 v29, -0.5, v7
	v_fmac_f16_e32 v26, 0x34f2, v25
	v_fmac_f16_e32 v42, 0x34f2, v25
	v_fmamk_f16 v22, v1, 0x3b9c, v19
	v_sub_f16_e32 v7, v5, v0
	v_sub_f16_e32 v25, v28, v2
	v_fmamk_f16 v39, v6, 0xbb9c, v29
	v_sub_f16_e32 v5, v0, v5
	v_sub_f16_e32 v40, v2, v28
	v_fmac_f16_e32 v29, 0x3b9c, v6
	v_fmac_f16_e32 v19, 0xbb9c, v1
	;; [unrolled: 1-line block ×3, first 2 shown]
	v_add_f16_e32 v7, v7, v25
	v_fmac_f16_e32 v39, 0x38b4, v1
	v_add_f16_e32 v5, v5, v40
	v_fmac_f16_e32 v29, 0xb8b4, v1
	v_fmac_f16_e32 v19, 0xb8b4, v6
	v_add_f16_e32 v0, v30, v0
	v_fmac_f16_e32 v22, 0x34f2, v7
	v_fmac_f16_e32 v39, 0x34f2, v5
	;; [unrolled: 1-line block ×4, first 2 shown]
	v_add_f16_e32 v0, v0, v2
	v_mul_f16_e32 v5, 0xb8b4, v22
	v_mul_f16_e32 v22, 0x3a79, v22
	;; [unrolled: 1-line block ×8, first 2 shown]
	v_add_f16_e32 v28, v0, v28
	v_fmac_f16_e32 v5, 0x3a79, v20
	v_fmac_f16_e32 v22, 0x38b4, v20
	;; [unrolled: 1-line block ×8, first 2 shown]
	v_add_f16_e32 v0, v3, v4
	v_add_f16_e32 v1, v21, v5
	;; [unrolled: 1-line block ×10, first 2 shown]
	v_sub_f16_e32 v3, v3, v4
	v_sub_f16_e32 v4, v21, v5
	;; [unrolled: 1-line block ×10, first 2 shown]
	v_pack_b32_f16 v20, v0, v19
	v_pack_b32_f16 v32, v1, v30
	;; [unrolled: 1-line block ×10, first 2 shown]
	ds_store_2addr_b32 v45, v20, v32 offset1:17
	ds_store_2addr_b32 v45, v33, v34 offset0:34 offset1:51
	ds_store_2addr_b32 v45, v37, v38 offset0:68 offset1:85
	;; [unrolled: 1-line block ×4, first 2 shown]
	global_wb scope:SCOPE_SE
	s_wait_dscnt 0x0
	s_barrier_signal -1
	s_barrier_wait -1
	global_inv scope:SCOPE_SE
	s_and_saveexec_b32 s1, s0
	s_cbranch_execz .LBB0_19
; %bb.18:
	v_add_nc_u32_e32 v2, 0x400, v35
	v_add_nc_u32_e32 v3, 0xa00, v35
	;; [unrolled: 1-line block ×4, first 2 shown]
	ds_load_2addr_b32 v[0:1], v35 offset1:170
	ds_load_2addr_b32 v[6:7], v2 offset0:84 offset1:254
	ds_load_2addr_b32 v[2:3], v3 offset0:40 offset1:210
	;; [unrolled: 1-line block ×4, first 2 shown]
	ds_load_b32 v66, v35 offset:6800
	s_wait_dscnt 0x3
	v_lshrrev_b32_e32 v25, 16, v2
	v_lshrrev_b32_e32 v19, 16, v0
	;; [unrolled: 1-line block ×6, first 2 shown]
	s_wait_dscnt 0x2
	v_lshrrev_b32_e32 v22, 16, v4
	v_lshrrev_b32_e32 v27, 16, v5
	s_wait_dscnt 0x1
	v_lshrrev_b32_e32 v28, 16, v17
	v_lshrrev_b32_e32 v31, 16, v18
	s_wait_dscnt 0x0
	v_lshrrev_b32_e32 v68, 16, v66
.LBB0_19:
	s_wait_alu 0xfffe
	s_or_b32 exec_lo, exec_lo, s1
	s_and_saveexec_b32 s1, s0
	s_cbranch_execz .LBB0_21
; %bb.20:
	v_mul_f16_e32 v32, v55, v30
	v_mul_f16_e32 v20, v56, v68
	;; [unrolled: 1-line block ×5, first 2 shown]
	v_fmac_f16_e32 v32, v12, v1
	v_fmac_f16_e32 v20, v24, v66
	v_mul_f16_e32 v37, v53, v29
	v_fmac_f16_e32 v38, v23, v18
	v_mul_f16_e32 v18, v54, v18
	v_fma_f16 v24, v24, v68, -v33
	v_fma_f16 v30, v12, v30, -v34
	v_sub_f16_e32 v12, v32, v20
	v_fmac_f16_e32 v37, v13, v6
	v_mul_f16_e32 v6, v53, v6
	v_fma_f16 v18, v23, v31, -v18
	v_mul_f16_e32 v31, v51, v26
	v_mul_f16_e32 v39, v52, v28
	;; [unrolled: 1-line block ×3, first 2 shown]
	v_add_f16_e32 v34, v24, v30
	v_sub_f16_e32 v1, v37, v38
	v_fma_f16 v6, v13, v29, -v6
	v_fmac_f16_e32 v31, v14, v7
	v_fmac_f16_e32 v39, v11, v17
	v_mul_f16_e32 v17, v52, v17
	v_mul_f16_e32 v7, v51, v7
	;; [unrolled: 1-line block ×4, first 2 shown]
	v_fmamk_f16 v13, v34, 0xb08e, v33
	v_mul_f16_e32 v23, 0x3482, v1
	v_add_f16_e32 v29, v18, v6
	v_sub_f16_e32 v43, v31, v39
	v_fma_f16 v11, v11, v28, -v17
	v_fma_f16 v7, v14, v26, -v7
	v_fmac_f16_e32 v41, v15, v2
	v_fmac_f16_e32 v42, v10, v5
	v_mul_f16_e32 v5, v50, v5
	v_mul_f16_e32 v2, v49, v2
	v_add_f16_e32 v13, v19, v13
	v_fmamk_f16 v40, v29, 0xbbad, v23
	v_mul_f16_e32 v14, 0x3b47, v43
	v_add_f16_e32 v17, v11, v7
	v_sub_f16_e32 v26, v41, v42
	v_fma_f16 v5, v10, v27, -v5
	v_fma_f16 v2, v15, v25, -v2
	v_add_f16_e32 v10, v40, v13
	v_fmamk_f16 v13, v17, 0x36a6, v14
	v_mul_f16_e32 v15, 0xb853, v26
	v_mul_f16_e32 v27, v47, v21
	v_add_f16_e32 v25, v5, v2
	v_mul_f16_e32 v28, v48, v22
	v_add_f16_e32 v10, v13, v10
	v_add_f16_e32 v40, v20, v32
	v_fmac_f16_e32 v27, v8, v3
	v_fmamk_f16 v13, v25, 0x3abb, v15
	v_fmac_f16_e32 v28, v9, v4
	v_mul_f16_e32 v4, v48, v4
	v_mul_f16_e32 v3, v47, v3
	v_sub_f16_e32 v46, v6, v18
	v_add_f16_e32 v10, v13, v10
	v_sub_f16_e32 v13, v30, v24
	v_sub_f16_e32 v45, v27, v28
	v_fma_f16 v4, v9, v22, -v4
	v_fma_f16 v3, v8, v21, -v3
	v_add_f16_e32 v9, v38, v37
	v_mul_f16_e32 v44, 0xbbeb, v13
	v_mul_f16_e32 v21, 0x3482, v46
	;; [unrolled: 1-line block ×3, first 2 shown]
	v_sub_f16_e32 v47, v7, v11
	v_add_f16_e32 v48, v4, v3
	v_fma_f16 v8, v40, 0xb08e, -v44
	v_fma_f16 v49, v9, 0xbbad, -v21
	v_add_f16_e32 v50, v39, v31
	v_mul_f16_e32 v51, 0x3b47, v47
	v_fmamk_f16 v52, v48, 0xb93d, v22
	v_add_f16_e32 v8, v0, v8
	v_add_f16_e32 v54, v42, v41
	v_mul_f16_e32 v57, 0x3beb, v1
	v_fma_f16 v53, v50, 0x36a6, -v51
	v_add_f16_e32 v10, v52, v10
	v_add_f16_e32 v8, v49, v8
	v_sub_f16_e32 v49, v2, v5
	v_mul_f16_e32 v52, 0xba0c, v12
	v_fma_f16 v33, v34, 0xb08e, -v33
	v_add_f16_e32 v59, v28, v27
	v_add_f16_e32 v8, v53, v8
	v_mul_f16_e32 v55, 0xb853, v49
	v_sub_f16_e32 v53, v3, v4
	v_fmamk_f16 v56, v34, 0xb93d, v52
	v_fma_f16 v52, v34, 0xb93d, -v52
	v_fmamk_f16 v61, v29, 0xb08e, v57
	v_fma_f16 v58, v54, 0x3abb, -v55
	v_mul_f16_e32 v60, 0xba0c, v53
	v_add_f16_e32 v56, v19, v56
	v_mul_f16_e32 v62, 0xb853, v43
	v_add_f16_e32 v52, v19, v52
	v_fma_f16 v57, v29, 0xb08e, -v57
	v_add_f16_e32 v33, v19, v33
	v_fma_f16 v23, v29, 0xbbad, -v23
	;; [unrolled: 2-line block ×3, first 2 shown]
	v_mul_f16_e32 v63, 0xba0c, v13
	v_add_f16_e32 v56, v61, v56
	v_fmamk_f16 v61, v17, 0x3abb, v62
	v_mul_f16_e32 v64, 0xb482, v26
	v_add_f16_e32 v52, v57, v52
	v_fma_f16 v57, v17, 0x3abb, -v62
	v_fmac_f16_e32 v44, 0xb08e, v40
	v_add_f16_e32 v23, v23, v33
	v_fma_f16 v14, v17, 0x36a6, -v14
	v_add_f16_e32 v8, v58, v8
	v_fma_f16 v58, v40, 0xb93d, -v63
	v_mul_f16_e32 v65, 0x3beb, v46
	v_add_f16_e32 v56, v61, v56
	v_fmamk_f16 v61, v25, 0xbbad, v64
	v_mul_f16_e32 v66, 0x3b47, v45
	v_fmac_f16_e32 v63, 0xb93d, v40
	v_add_f16_e32 v52, v57, v52
	v_fma_f16 v57, v25, 0xbbad, -v64
	v_add_f16_e32 v44, v0, v44
	v_fmac_f16_e32 v21, 0xbbad, v9
	v_add_f16_e32 v14, v14, v23
	v_fma_f16 v15, v25, 0x3abb, -v15
	v_mul_f16_e32 v23, 0x36a6, v34
	v_add_f16_e32 v58, v0, v58
	v_fma_f16 v67, v9, 0xb08e, -v65
	v_mul_f16_e32 v68, 0xb853, v47
	v_add_f16_e32 v56, v61, v56
	v_fmamk_f16 v61, v48, 0x36a6, v66
	v_mul_f16_e32 v69, 0xb482, v12
	v_add_f16_e32 v63, v0, v63
	v_fmac_f16_e32 v65, 0xb08e, v9
	v_add_f16_e32 v52, v57, v52
	v_fma_f16 v57, v48, 0x36a6, -v66
	v_add_f16_e32 v21, v21, v44
	v_fmac_f16_e32 v51, 0x36a6, v50
	v_add_f16_e32 v14, v15, v14
	v_fmamk_f16 v15, v12, 0x3b47, v23
	v_mul_f16_e32 v44, 0xb93d, v29
	v_add_f16_e32 v58, v67, v58
	v_fma_f16 v67, v50, 0x3abb, -v68
	v_mul_f16_e32 v70, 0xb482, v49
	v_add_f16_e32 v56, v61, v56
	v_fmamk_f16 v61, v34, 0xbbad, v69
	v_mul_f16_e32 v71, 0x3853, v1
	v_fma_f16 v69, v34, 0xbbad, -v69
	v_add_f16_e32 v63, v65, v63
	v_fmac_f16_e32 v68, 0x3abb, v50
	v_add_f16_e32 v52, v57, v52
	v_fma_f16 v22, v48, 0xb93d, -v22
	v_add_f16_e32 v21, v51, v21
	v_fmac_f16_e32 v55, 0x3abb, v54
	v_add_f16_e32 v15, v19, v15
	v_fmamk_f16 v51, v1, 0x3a0c, v44
	v_mul_f16_e32 v57, 0xbbad, v17
	v_add_f16_e32 v58, v67, v58
	v_fma_f16 v67, v54, 0xbbad, -v70
	v_fmamk_f16 v73, v29, 0x3abb, v71
	v_mul_f16_e32 v74, 0xba0c, v43
	v_add_f16_e32 v69, v19, v69
	v_fma_f16 v71, v29, 0x3abb, -v71
	v_add_f16_e32 v63, v68, v63
	v_fmac_f16_e32 v70, 0xbbad, v54
	v_add_f16_e32 v14, v22, v14
	v_add_f16_e32 v21, v55, v21
	v_mul_f16_e32 v22, 0xbb47, v13
	v_add_f16_e32 v15, v51, v15
	v_fmamk_f16 v51, v43, 0xb482, v57
	v_mul_f16_e32 v55, 0xb08e, v25
	v_mul_f16_e32 v76, 0x3b47, v26
	v_add_f16_e32 v69, v71, v69
	v_fma_f16 v71, v17, 0xb93d, -v74
	v_add_f16_e32 v33, v70, v63
	v_fmac_f16_e32 v60, 0xb93d, v59
	v_fmamk_f16 v63, v40, 0x36a6, v22
	v_mul_f16_e32 v64, 0xba0c, v46
	v_add_f16_e32 v15, v51, v15
	v_fmamk_f16 v51, v26, 0xbbeb, v55
	v_mul_f16_e32 v78, 0xbbeb, v45
	v_add_f16_e32 v69, v71, v69
	v_fma_f16 v71, v25, 0x36a6, -v76
	v_add_f16_e32 v21, v60, v21
	v_add_f16_e32 v60, v0, v63
	v_fmamk_f16 v63, v9, 0xb93d, v64
	v_mul_f16_e32 v65, 0x3482, v47
	v_add_f16_e32 v15, v51, v15
	v_mul_f16_e32 v34, 0x3abb, v34
	v_mul_f16_e32 v51, 0x3abb, v48
	v_add_f16_e32 v69, v71, v69
	v_fma_f16 v71, v48, 0xb08e, -v78
	v_add_f16_e32 v60, v63, v60
	v_fmamk_f16 v63, v50, 0xbbad, v65
	v_mul_f16_e32 v66, 0x3beb, v49
	v_fmamk_f16 v68, v12, 0x3853, v34
	v_mul_f16_e32 v29, 0x36a6, v29
	v_fmamk_f16 v70, v45, 0xb853, v51
	v_add_f16_e32 v32, v0, v32
	v_add_f16_e32 v30, v30, v19
	;; [unrolled: 1-line block ×4, first 2 shown]
	v_fmamk_f16 v63, v54, 0xb08e, v66
	v_add_f16_e32 v68, v19, v68
	v_fmamk_f16 v71, v1, 0x3b47, v29
	v_add_f16_e32 v15, v70, v15
	v_mul_f16_e32 v70, 0x3853, v53
	v_add_f16_e32 v32, v37, v32
	v_add_f16_e32 v6, v6, v30
	v_mul_f16_e32 v75, 0xb482, v13
	v_add_f16_e32 v60, v63, v60
	v_add_f16_e32 v63, v71, v68
	v_fmamk_f16 v71, v59, 0x3abb, v70
	v_mul_f16_e32 v13, 0xb853, v13
	v_add_f16_e32 v31, v31, v32
	v_add_f16_e32 v6, v7, v6
	v_mul_f16_e32 v72, 0x3b47, v53
	v_add_f16_e32 v30, v71, v60
	v_fmamk_f16 v60, v40, 0x3abb, v13
	v_mul_f16_e32 v7, 0xbb47, v46
	v_add_f16_e32 v31, v41, v31
	v_add_f16_e32 v2, v2, v6
	;; [unrolled: 1-line block ×4, first 2 shown]
	v_fma_f16 v67, v59, 0x36a6, -v72
	v_mul_f16_e32 v77, 0x3853, v46
	v_add_f16_e32 v46, v0, v60
	v_fmamk_f16 v6, v9, 0x36a6, v7
	v_mul_f16_e32 v41, 0xbbeb, v47
	v_add_f16_e32 v27, v27, v31
	v_add_f16_e32 v2, v3, v2
	;; [unrolled: 1-line block ×3, first 2 shown]
	v_fmamk_f16 v73, v17, 0xb93d, v74
	v_add_f16_e32 v58, v67, v58
	v_fma_f16 v67, v40, 0xbbad, -v75
	v_add_f16_e32 v3, v6, v46
	v_fmamk_f16 v6, v50, 0xb08e, v41
	v_add_f16_e32 v27, v28, v27
	v_add_f16_e32 v2, v4, v2
	v_fmac_f16_e32 v23, 0xbb47, v12
	v_mul_f16_e32 v4, 0xba0c, v49
	v_add_f16_e32 v61, v73, v61
	v_fmamk_f16 v73, v25, 0x36a6, v76
	v_add_f16_e32 v67, v0, v67
	v_fma_f16 v79, v9, 0x3abb, -v77
	v_mul_f16_e32 v80, 0xba0c, v47
	v_add_f16_e32 v3, v6, v3
	v_add_f16_e32 v6, v42, v27
	;; [unrolled: 1-line block ×4, first 2 shown]
	v_fmamk_f16 v23, v54, 0xb93d, v4
	v_mul_f16_e32 v27, 0xb482, v53
	v_add_f16_e32 v61, v73, v61
	v_fmamk_f16 v73, v48, 0xb08e, v78
	v_add_f16_e32 v67, v79, v67
	v_fma_f16 v79, v50, 0xb93d, -v80
	v_mul_f16_e32 v81, 0x3b47, v49
	v_add_f16_e32 v2, v11, v2
	v_add_f16_e32 v3, v23, v3
	v_fmamk_f16 v11, v59, 0xbbad, v27
	v_mul_f16_e32 v17, 0xb08e, v17
	v_add_f16_e32 v61, v73, v61
	v_add_f16_e32 v67, v79, v67
	v_fma_f16 v73, v54, 0x36a6, -v81
	v_mul_f16_e32 v79, 0xbbeb, v53
	v_fmac_f16_e32 v75, 0xbbad, v40
	v_add_f16_e32 v3, v11, v3
	v_fma_f16 v11, v40, 0x36a6, -v22
	v_fmac_f16_e32 v34, 0xb853, v12
	v_fma_f16 v12, v40, 0x3abb, -v13
	v_fmamk_f16 v68, v43, 0x3beb, v17
	v_mul_f16_e32 v25, 0xb93d, v25
	v_add_f16_e32 v67, v73, v67
	v_fma_f16 v73, v59, 0xb08e, -v79
	v_add_f16_e32 v74, v0, v75
	v_fmac_f16_e32 v77, 0x3abb, v9
	v_fmac_f16_e32 v44, 0xba0c, v1
	v_add_f16_e32 v11, v0, v11
	v_fma_f16 v13, v9, 0xb93d, -v64
	v_add_f16_e32 v2, v18, v2
	v_add_f16_e32 v18, v19, v34
	v_fmac_f16_e32 v29, 0xbb47, v1
	v_add_f16_e32 v0, v0, v12
	v_fma_f16 v1, v9, 0x36a6, -v7
	v_add_f16_e32 v63, v68, v63
	v_fmamk_f16 v68, v26, 0x3a0c, v25
	v_mul_f16_e32 v32, 0xbbad, v48
	v_add_f16_e32 v6, v39, v6
	v_add_f16_e32 v67, v73, v67
	v_add_f16_e32 v73, v77, v74
	v_fmac_f16_e32 v80, 0xb93d, v50
	v_add_f16_e32 v5, v44, v5
	v_fmac_f16_e32 v57, 0x3482, v43
	v_add_f16_e32 v7, v13, v11
	v_fma_f16 v9, v50, 0xbbad, -v65
	v_add_f16_e32 v11, v29, v18
	v_fmac_f16_e32 v17, 0xbbeb, v43
	v_add_f16_e32 v0, v1, v0
	v_fma_f16 v1, v50, 0xb08e, -v41
	v_add_f16_e32 v37, v68, v63
	v_fmamk_f16 v47, v45, 0x3482, v32
	v_add_f16_e32 v6, v38, v6
	v_add_f16_e32 v73, v80, v73
	v_fmac_f16_e32 v81, 0x36a6, v54
	v_add_f16_e32 v5, v57, v5
	v_fmac_f16_e32 v55, 0x3beb, v26
	v_add_f16_e32 v7, v9, v7
	v_fma_f16 v9, v54, 0xb08e, -v66
	v_add_f16_e32 v11, v17, v11
	v_fmac_f16_e32 v25, 0xba0c, v26
	v_add_f16_e32 v0, v1, v0
	v_fma_f16 v1, v54, 0xb93d, -v4
	v_add_f16_e32 v31, v47, v37
	v_add_f16_e32 v6, v20, v6
	;; [unrolled: 1-line block ×4, first 2 shown]
	v_fmac_f16_e32 v79, 0xb08e, v59
	v_fmac_f16_e32 v72, 0x36a6, v59
	v_add_f16_e32 v5, v55, v5
	v_fmac_f16_e32 v51, 0x3853, v45
	v_add_f16_e32 v4, v9, v7
	v_fma_f16 v7, v59, 0x3abb, -v70
	v_add_f16_e32 v9, v25, v11
	v_fmac_f16_e32 v32, 0xb482, v45
	v_add_f16_e32 v0, v1, v0
	v_fma_f16 v1, v59, 0xbbad, -v27
	v_pack_b32_f16 v2, v6, v2
	v_pack_b32_f16 v3, v3, v31
	v_add_f16_e32 v62, v79, v62
	v_add_f16_e32 v33, v72, v33
	;; [unrolled: 1-line block ×6, first 2 shown]
	ds_store_2addr_b32 v35, v2, v3 offset1:170
	v_pack_b32_f16 v1, v30, v15
	v_pack_b32_f16 v2, v21, v14
	v_add_nc_u32_e32 v3, 0x400, v35
	v_pack_b32_f16 v7, v33, v52
	v_pack_b32_f16 v9, v62, v69
	v_add_nc_u32_e32 v11, 0xa00, v35
	;; [unrolled: 3-line block ×4, first 2 shown]
	v_pack_b32_f16 v0, v0, v6
	ds_store_2addr_b32 v3, v1, v2 offset0:84 offset1:254
	ds_store_2addr_b32 v11, v7, v9 offset0:40 offset1:210
	;; [unrolled: 1-line block ×4, first 2 shown]
	ds_store_b32 v35, v0 offset:6800
.LBB0_21:
	s_wait_alu 0xfffe
	s_or_b32 exec_lo, exec_lo, s1
	global_wb scope:SCOPE_SE
	s_wait_dscnt 0x0
	s_barrier_signal -1
	s_barrier_wait -1
	global_inv scope:SCOPE_SE
	s_and_b32 exec_lo, exec_lo, vcc_lo
	s_cbranch_execz .LBB0_23
; %bb.22:
	global_load_b32 v0, v35, s[12:13]
	ds_load_b32 v1, v35
	s_mov_b32 s8, 0xfa401186
	s_mov_b32 s9, 0x3f4185e2
	v_mad_co_u64_u32 v[6:7], null, s4, v36, 0
	s_wait_dscnt 0x0
	v_lshrrev_b32_e32 v2, 16, v1
	s_wait_loadcnt 0x0
	v_lshrrev_b32_e32 v3, 16, v0
	s_delay_alu instid0(VALU_DEP_1) | instskip(SKIP_1) | instid1(VALU_DEP_2)
	v_mul_f16_e32 v4, v2, v3
	v_mul_f16_e32 v3, v1, v3
	v_fmac_f16_e32 v4, v1, v0
	s_delay_alu instid0(VALU_DEP_2) | instskip(NEXT) | instid1(VALU_DEP_2)
	v_fma_f16 v0, v0, v2, -v3
	v_cvt_f32_f16_e32 v1, v4
	s_delay_alu instid0(VALU_DEP_2) | instskip(SKIP_1) | instid1(VALU_DEP_3)
	v_cvt_f32_f16_e32 v2, v0
	v_mad_co_u64_u32 v[4:5], null, s6, v16, 0
	v_cvt_f64_f32_e32 v[0:1], v1
	s_delay_alu instid0(VALU_DEP_3) | instskip(SKIP_1) | instid1(VALU_DEP_2)
	v_cvt_f64_f32_e32 v[2:3], v2
	s_wait_alu 0xfffe
	v_mul_f64_e32 v[0:1], s[8:9], v[0:1]
	s_delay_alu instid0(VALU_DEP_2) | instskip(NEXT) | instid1(VALU_DEP_2)
	v_mul_f64_e32 v[2:3], s[8:9], v[2:3]
	v_and_or_b32 v0, 0x1ff, v1, v0
	s_delay_alu instid0(VALU_DEP_2)
	v_and_or_b32 v2, 0x1ff, v3, v2
	v_lshrrev_b32_e32 v8, 8, v1
	v_bfe_u32 v10, v1, 20, 11
	v_lshrrev_b32_e32 v9, 8, v3
	v_cmp_ne_u32_e32 vcc_lo, 0, v0
	v_bfe_u32 v11, v3, 20, 11
	v_mov_b32_e32 v0, v7
	v_sub_nc_u32_e32 v13, 0x3f1, v10
	v_lshrrev_b32_e32 v3, 16, v3
	v_cndmask_b32_e64 v12, 0, 1, vcc_lo
	v_cmp_ne_u32_e32 vcc_lo, 0, v2
	v_sub_nc_u32_e32 v14, 0x3f1, v11
	v_med3_i32 v13, v13, 0, 13
	s_delay_alu instid0(VALU_DEP_4)
	v_and_or_b32 v12, 0xffe, v8, v12
	s_wait_alu 0xfffd
	v_cndmask_b32_e64 v2, 0, 1, vcc_lo
	v_mad_co_u64_u32 v[7:8], null, s7, v16, v[5:6]
	v_med3_i32 v14, v14, 0, 13
	v_or_b32_e32 v15, 0x1000, v12
	s_delay_alu instid0(VALU_DEP_4) | instskip(NEXT) | instid1(VALU_DEP_4)
	v_and_or_b32 v2, 0xffe, v9, v2
	v_mov_b32_e32 v5, v7
	s_delay_alu instid0(VALU_DEP_2) | instskip(SKIP_2) | instid1(VALU_DEP_4)
	v_or_b32_e32 v16, 0x1000, v2
	v_mad_co_u64_u32 v[8:9], null, s5, v36, v[0:1]
	v_lshrrev_b32_e32 v0, v13, v15
	v_lshlrev_b64_e32 v[4:5], 2, v[4:5]
	s_delay_alu instid0(VALU_DEP_4) | instskip(SKIP_1) | instid1(VALU_DEP_3)
	v_lshrrev_b32_e32 v9, v14, v16
	s_mul_u64 s[4:5], s[4:5], 0x1b8
	v_lshlrev_b32_e32 v13, v13, v0
	s_delay_alu instid0(VALU_DEP_2) | instskip(NEXT) | instid1(VALU_DEP_2)
	v_dual_mov_b32 v7, v8 :: v_dual_lshlrev_b32 v8, v14, v9
	v_cmp_ne_u32_e32 vcc_lo, v13, v15
	s_wait_alu 0xfffd
	v_cndmask_b32_e64 v13, 0, 1, vcc_lo
	s_delay_alu instid0(VALU_DEP_3) | instskip(NEXT) | instid1(VALU_DEP_2)
	v_cmp_ne_u32_e32 vcc_lo, v8, v16
	v_or_b32_e32 v0, v0, v13
	v_add_nc_u32_e32 v11, 0xfffffc10, v11
	s_wait_alu 0xfffd
	v_cndmask_b32_e64 v8, 0, 1, vcc_lo
	s_delay_alu instid0(VALU_DEP_2) | instskip(NEXT) | instid1(VALU_DEP_2)
	v_lshl_or_b32 v13, v11, 12, v2
	v_or_b32_e32 v8, v9, v8
	v_add_nc_u32_e32 v10, 0xfffffc10, v10
	v_lshrrev_b32_e32 v9, 16, v1
	s_delay_alu instid0(VALU_DEP_2) | instskip(SKIP_2) | instid1(VALU_DEP_2)
	v_lshl_or_b32 v14, v10, 12, v12
	v_cmp_gt_i32_e32 vcc_lo, 1, v10
	s_wait_alu 0xfffd
	v_cndmask_b32_e32 v0, v14, v0, vcc_lo
	v_cmp_gt_i32_e32 vcc_lo, 1, v11
	s_wait_alu 0xfffd
	v_cndmask_b32_e32 v1, v13, v8, vcc_lo
	v_cmp_ne_u32_e32 vcc_lo, 0, v12
	v_and_b32_e32 v12, 7, v0
	v_lshrrev_b32_e32 v0, 2, v0
	s_wait_alu 0xfffd
	v_cndmask_b32_e64 v8, 0, 1, vcc_lo
	v_cmp_ne_u32_e32 vcc_lo, 0, v2
	v_cmp_eq_u32_e64 s0, 3, v12
	s_delay_alu instid0(VALU_DEP_3) | instskip(SKIP_3) | instid1(VALU_DEP_2)
	v_lshl_or_b32 v8, v8, 9, 0x7c00
	s_wait_alu 0xfffd
	v_cndmask_b32_e64 v2, 0, 1, vcc_lo
	v_cmp_lt_i32_e32 vcc_lo, 5, v12
	v_lshl_or_b32 v2, v2, 9, 0x7c00
	s_or_b32 vcc_lo, s0, vcc_lo
	s_wait_alu 0xfffe
	v_add_co_ci_u32_e32 v0, vcc_lo, 0, v0, vcc_lo
	v_and_b32_e32 v13, 7, v1
	v_lshrrev_b32_e32 v1, 2, v1
	s_delay_alu instid0(VALU_DEP_2) | instskip(SKIP_1) | instid1(VALU_DEP_1)
	v_cmp_lt_i32_e64 s1, 5, v13
	v_cmp_eq_u32_e64 s2, 3, v13
	s_or_b32 vcc_lo, s2, s1
	s_wait_alu 0xfffe
	v_add_co_ci_u32_e32 v1, vcc_lo, 0, v1, vcc_lo
	v_cmp_gt_i32_e32 vcc_lo, 31, v10
	s_wait_alu 0xfffd
	v_cndmask_b32_e32 v0, 0x7c00, v0, vcc_lo
	v_cmp_gt_i32_e32 vcc_lo, 31, v11
	s_wait_alu 0xfffd
	v_cndmask_b32_e32 v12, 0x7c00, v1, vcc_lo
	v_cmp_eq_u32_e32 vcc_lo, 0x40f, v10
	s_wait_alu 0xfffd
	v_cndmask_b32_e32 v8, v0, v8, vcc_lo
	v_cmp_eq_u32_e32 vcc_lo, 0x40f, v11
	v_lshlrev_b64_e32 v[0:1], 2, v[6:7]
	s_delay_alu instid0(VALU_DEP_3)
	v_and_or_b32 v6, 0x8000, v9, v8
	s_wait_alu 0xfffd
	v_cndmask_b32_e32 v2, v12, v2, vcc_lo
	v_add_co_u32 v4, vcc_lo, s14, v4
	s_wait_alu 0xfffd
	v_add_co_ci_u32_e32 v5, vcc_lo, s15, v5, vcc_lo
	s_delay_alu instid0(VALU_DEP_3) | instskip(SKIP_4) | instid1(VALU_DEP_3)
	v_and_or_b32 v2, 0x8000, v3, v2
	v_and_b32_e32 v3, 0xffff, v6
	v_add_co_u32 v0, vcc_lo, v4, v0
	s_wait_alu 0xfffd
	v_add_co_ci_u32_e32 v1, vcc_lo, v5, v1, vcc_lo
	v_lshl_or_b32 v2, v2, 16, v3
	global_store_b32 v[0:1], v2, off
	global_load_b32 v4, v35, s[12:13] offset:440
	ds_load_2addr_b32 v[2:3], v35 offset0:110 offset1:220
	s_wait_dscnt 0x0
	v_lshrrev_b32_e32 v5, 16, v2
	s_wait_loadcnt 0x0
	v_lshrrev_b32_e32 v6, 16, v4
	s_delay_alu instid0(VALU_DEP_1) | instskip(SKIP_1) | instid1(VALU_DEP_2)
	v_mul_f16_e32 v7, v5, v6
	v_mul_f16_e32 v6, v2, v6
	v_fmac_f16_e32 v7, v2, v4
	s_delay_alu instid0(VALU_DEP_2) | instskip(NEXT) | instid1(VALU_DEP_2)
	v_fma_f16 v2, v4, v5, -v6
	v_cvt_f32_f16_e32 v4, v7
	s_delay_alu instid0(VALU_DEP_2) | instskip(NEXT) | instid1(VALU_DEP_2)
	v_cvt_f32_f16_e32 v2, v2
	v_cvt_f64_f32_e32 v[4:5], v4
	s_delay_alu instid0(VALU_DEP_2) | instskip(NEXT) | instid1(VALU_DEP_2)
	v_cvt_f64_f32_e32 v[6:7], v2
	v_mul_f64_e32 v[4:5], s[8:9], v[4:5]
	s_delay_alu instid0(VALU_DEP_2) | instskip(NEXT) | instid1(VALU_DEP_2)
	v_mul_f64_e32 v[6:7], s[8:9], v[6:7]
	v_and_or_b32 v2, 0x1ff, v5, v4
	s_delay_alu instid0(VALU_DEP_2)
	v_and_or_b32 v6, 0x1ff, v7, v6
	v_lshrrev_b32_e32 v4, 8, v5
	v_bfe_u32 v8, v5, 20, 11
	v_lshrrev_b32_e32 v9, 8, v7
	v_cmp_ne_u32_e32 vcc_lo, 0, v2
	v_bfe_u32 v10, v7, 20, 11
	v_lshrrev_b32_e32 v5, 16, v5
	v_sub_nc_u32_e32 v11, 0x3f1, v8
	v_add_nc_u32_e32 v8, 0xfffffc10, v8
	s_wait_alu 0xfffd
	v_cndmask_b32_e64 v2, 0, 1, vcc_lo
	v_cmp_ne_u32_e32 vcc_lo, 0, v6
	v_lshrrev_b32_e32 v7, 16, v7
	s_delay_alu instid0(VALU_DEP_3) | instskip(SKIP_4) | instid1(VALU_DEP_3)
	v_and_or_b32 v2, 0xffe, v4, v2
	s_wait_alu 0xfffd
	v_cndmask_b32_e64 v6, 0, 1, vcc_lo
	v_sub_nc_u32_e32 v4, 0x3f1, v10
	v_add_nc_u32_e32 v10, 0xfffffc10, v10
	v_and_or_b32 v6, 0xffe, v9, v6
	v_med3_i32 v9, v11, 0, 13
	v_or_b32_e32 v11, 0x1000, v2
	v_med3_i32 v4, v4, 0, 13
	s_delay_alu instid0(VALU_DEP_4) | instskip(NEXT) | instid1(VALU_DEP_3)
	v_or_b32_e32 v12, 0x1000, v6
	v_lshrrev_b32_e32 v13, v9, v11
	s_delay_alu instid0(VALU_DEP_2) | instskip(NEXT) | instid1(VALU_DEP_2)
	v_lshrrev_b32_e32 v14, v4, v12
	v_lshlrev_b32_e32 v9, v9, v13
	s_delay_alu instid0(VALU_DEP_2) | instskip(NEXT) | instid1(VALU_DEP_2)
	v_lshlrev_b32_e32 v4, v4, v14
	v_cmp_ne_u32_e32 vcc_lo, v9, v11
	v_lshl_or_b32 v11, v8, 12, v2
	s_wait_alu 0xfffd
	v_cndmask_b32_e64 v9, 0, 1, vcc_lo
	v_cmp_ne_u32_e32 vcc_lo, v4, v12
	v_lshl_or_b32 v12, v10, 12, v6
	s_delay_alu instid0(VALU_DEP_3) | instskip(SKIP_3) | instid1(VALU_DEP_2)
	v_or_b32_e32 v9, v13, v9
	s_wait_alu 0xfffd
	v_cndmask_b32_e64 v4, 0, 1, vcc_lo
	v_cmp_gt_i32_e32 vcc_lo, 1, v8
	v_or_b32_e32 v4, v14, v4
	s_wait_alu 0xfffd
	v_cndmask_b32_e32 v9, v11, v9, vcc_lo
	v_cmp_gt_i32_e32 vcc_lo, 1, v10
	s_wait_alu 0xfffd
	s_delay_alu instid0(VALU_DEP_2) | instskip(SKIP_2) | instid1(VALU_DEP_3)
	v_dual_cndmask_b32 v4, v12, v4 :: v_dual_and_b32 v11, 7, v9
	v_cmp_ne_u32_e32 vcc_lo, 0, v2
	v_lshrrev_b32_e32 v9, 2, v9
	v_cmp_eq_u32_e64 s0, 3, v11
	s_delay_alu instid0(VALU_DEP_4)
	v_and_b32_e32 v12, 7, v4
	s_wait_alu 0xfffd
	v_cndmask_b32_e64 v2, 0, 1, vcc_lo
	v_cmp_ne_u32_e32 vcc_lo, 0, v6
	v_lshrrev_b32_e32 v4, 2, v4
	v_cmp_lt_i32_e64 s1, 5, v12
	v_cmp_eq_u32_e64 s2, 3, v12
	s_wait_alu 0xfffd
	v_cndmask_b32_e64 v6, 0, 1, vcc_lo
	v_cmp_lt_i32_e32 vcc_lo, 5, v11
	v_lshl_or_b32 v2, v2, 9, 0x7c00
	s_delay_alu instid0(VALU_DEP_3)
	v_lshl_or_b32 v6, v6, 9, 0x7c00
	s_or_b32 vcc_lo, s0, vcc_lo
	s_wait_alu 0xfffe
	v_add_co_ci_u32_e32 v9, vcc_lo, 0, v9, vcc_lo
	s_or_b32 vcc_lo, s2, s1
	s_wait_alu 0xfffe
	v_add_co_ci_u32_e32 v4, vcc_lo, 0, v4, vcc_lo
	v_cmp_gt_i32_e32 vcc_lo, 31, v8
	s_wait_alu 0xfffd
	v_cndmask_b32_e32 v9, 0x7c00, v9, vcc_lo
	v_cmp_gt_i32_e32 vcc_lo, 31, v10
	s_wait_alu 0xfffd
	v_cndmask_b32_e32 v4, 0x7c00, v4, vcc_lo
	v_cmp_eq_u32_e32 vcc_lo, 0x40f, v8
	s_wait_alu 0xfffd
	v_cndmask_b32_e32 v2, v9, v2, vcc_lo
	v_cmp_eq_u32_e32 vcc_lo, 0x40f, v10
	s_delay_alu instid0(VALU_DEP_2)
	v_and_or_b32 v2, 0x8000, v5, v2
	s_wait_alu 0xfffd
	v_cndmask_b32_e32 v4, v4, v6, vcc_lo
	v_add_co_u32 v0, vcc_lo, v0, s4
	s_wait_alu 0xfffd
	v_add_co_ci_u32_e32 v1, vcc_lo, s5, v1, vcc_lo
	s_delay_alu instid0(VALU_DEP_3) | instskip(SKIP_1) | instid1(VALU_DEP_1)
	v_and_or_b32 v4, 0x8000, v7, v4
	v_and_b32_e32 v2, 0xffff, v2
	v_lshl_or_b32 v2, v4, 16, v2
	v_lshrrev_b32_e32 v4, 16, v3
	global_store_b32 v[0:1], v2, off
	global_load_b32 v2, v35, s[12:13] offset:880
	s_wait_loadcnt 0x0
	v_lshrrev_b32_e32 v5, 16, v2
	s_delay_alu instid0(VALU_DEP_1) | instskip(SKIP_1) | instid1(VALU_DEP_2)
	v_mul_f16_e32 v6, v4, v5
	v_mul_f16_e32 v5, v3, v5
	v_fmac_f16_e32 v6, v3, v2
	s_delay_alu instid0(VALU_DEP_2) | instskip(NEXT) | instid1(VALU_DEP_2)
	v_fma_f16 v2, v2, v4, -v5
	v_cvt_f32_f16_e32 v3, v6
	s_delay_alu instid0(VALU_DEP_2) | instskip(NEXT) | instid1(VALU_DEP_2)
	v_cvt_f32_f16_e32 v4, v2
	v_cvt_f64_f32_e32 v[2:3], v3
	s_delay_alu instid0(VALU_DEP_2) | instskip(NEXT) | instid1(VALU_DEP_2)
	v_cvt_f64_f32_e32 v[4:5], v4
	v_mul_f64_e32 v[2:3], s[8:9], v[2:3]
	s_delay_alu instid0(VALU_DEP_2) | instskip(NEXT) | instid1(VALU_DEP_2)
	v_mul_f64_e32 v[4:5], s[8:9], v[4:5]
	v_and_or_b32 v2, 0x1ff, v3, v2
	s_delay_alu instid0(VALU_DEP_2)
	v_and_or_b32 v4, 0x1ff, v5, v4
	v_lshrrev_b32_e32 v6, 8, v3
	v_bfe_u32 v7, v3, 20, 11
	v_lshrrev_b32_e32 v8, 8, v5
	v_cmp_ne_u32_e32 vcc_lo, 0, v2
	v_bfe_u32 v9, v5, 20, 11
	v_lshrrev_b32_e32 v3, 16, v3
	v_sub_nc_u32_e32 v10, 0x3f1, v7
	v_add_nc_u32_e32 v7, 0xfffffc10, v7
	s_wait_alu 0xfffd
	v_cndmask_b32_e64 v2, 0, 1, vcc_lo
	v_cmp_ne_u32_e32 vcc_lo, 0, v4
	v_lshrrev_b32_e32 v5, 16, v5
	s_delay_alu instid0(VALU_DEP_3) | instskip(SKIP_4) | instid1(VALU_DEP_3)
	v_and_or_b32 v2, 0xffe, v6, v2
	s_wait_alu 0xfffd
	v_cndmask_b32_e64 v4, 0, 1, vcc_lo
	v_sub_nc_u32_e32 v6, 0x3f1, v9
	v_add_nc_u32_e32 v9, 0xfffffc10, v9
	v_and_or_b32 v4, 0xffe, v8, v4
	v_med3_i32 v8, v10, 0, 13
	v_or_b32_e32 v10, 0x1000, v2
	v_med3_i32 v6, v6, 0, 13
	s_delay_alu instid0(VALU_DEP_4) | instskip(NEXT) | instid1(VALU_DEP_3)
	v_or_b32_e32 v11, 0x1000, v4
	v_lshrrev_b32_e32 v12, v8, v10
	s_delay_alu instid0(VALU_DEP_2) | instskip(NEXT) | instid1(VALU_DEP_2)
	v_lshrrev_b32_e32 v13, v6, v11
	v_lshlrev_b32_e32 v8, v8, v12
	s_delay_alu instid0(VALU_DEP_2) | instskip(NEXT) | instid1(VALU_DEP_2)
	v_lshlrev_b32_e32 v6, v6, v13
	v_cmp_ne_u32_e32 vcc_lo, v8, v10
	v_lshl_or_b32 v10, v7, 12, v2
	s_wait_alu 0xfffd
	v_cndmask_b32_e64 v8, 0, 1, vcc_lo
	v_cmp_ne_u32_e32 vcc_lo, v6, v11
	v_lshl_or_b32 v11, v9, 12, v4
	s_delay_alu instid0(VALU_DEP_3) | instskip(SKIP_3) | instid1(VALU_DEP_2)
	v_or_b32_e32 v8, v12, v8
	s_wait_alu 0xfffd
	v_cndmask_b32_e64 v6, 0, 1, vcc_lo
	v_cmp_gt_i32_e32 vcc_lo, 1, v7
	v_or_b32_e32 v6, v13, v6
	s_wait_alu 0xfffd
	v_cndmask_b32_e32 v8, v10, v8, vcc_lo
	v_cmp_gt_i32_e32 vcc_lo, 1, v9
	s_delay_alu instid0(VALU_DEP_2)
	v_and_b32_e32 v10, 7, v8
	s_wait_alu 0xfffd
	v_cndmask_b32_e32 v6, v11, v6, vcc_lo
	v_cmp_ne_u32_e32 vcc_lo, 0, v2
	v_lshrrev_b32_e32 v8, 2, v8
	v_cmp_eq_u32_e64 s0, 3, v10
	s_delay_alu instid0(VALU_DEP_4)
	v_and_b32_e32 v11, 7, v6
	s_wait_alu 0xfffd
	v_cndmask_b32_e64 v2, 0, 1, vcc_lo
	v_cmp_ne_u32_e32 vcc_lo, 0, v4
	v_lshrrev_b32_e32 v6, 2, v6
	v_cmp_lt_i32_e64 s1, 5, v11
	v_cmp_eq_u32_e64 s2, 3, v11
	s_wait_alu 0xfffd
	v_cndmask_b32_e64 v4, 0, 1, vcc_lo
	v_cmp_lt_i32_e32 vcc_lo, 5, v10
	v_lshl_or_b32 v2, v2, 9, 0x7c00
	s_delay_alu instid0(VALU_DEP_3)
	v_lshl_or_b32 v4, v4, 9, 0x7c00
	s_or_b32 vcc_lo, s0, vcc_lo
	s_wait_alu 0xfffe
	v_add_co_ci_u32_e32 v8, vcc_lo, 0, v8, vcc_lo
	s_or_b32 vcc_lo, s2, s1
	s_wait_alu 0xfffe
	v_add_co_ci_u32_e32 v6, vcc_lo, 0, v6, vcc_lo
	v_cmp_gt_i32_e32 vcc_lo, 31, v7
	s_wait_alu 0xfffd
	v_cndmask_b32_e32 v8, 0x7c00, v8, vcc_lo
	v_cmp_gt_i32_e32 vcc_lo, 31, v9
	s_wait_alu 0xfffd
	v_cndmask_b32_e32 v6, 0x7c00, v6, vcc_lo
	v_cmp_eq_u32_e32 vcc_lo, 0x40f, v7
	s_wait_alu 0xfffd
	v_cndmask_b32_e32 v2, v8, v2, vcc_lo
	v_cmp_eq_u32_e32 vcc_lo, 0x40f, v9
	s_delay_alu instid0(VALU_DEP_2)
	v_and_or_b32 v2, 0x8000, v3, v2
	s_wait_alu 0xfffd
	v_cndmask_b32_e32 v4, v6, v4, vcc_lo
	v_add_co_u32 v0, vcc_lo, v0, s4
	s_wait_alu 0xfffd
	v_add_co_ci_u32_e32 v1, vcc_lo, s5, v1, vcc_lo
	s_delay_alu instid0(VALU_DEP_3) | instskip(SKIP_1) | instid1(VALU_DEP_1)
	v_and_or_b32 v3, 0x8000, v5, v4
	v_and_b32_e32 v2, 0xffff, v2
	v_lshl_or_b32 v2, v3, 16, v2
	global_store_b32 v[0:1], v2, off
	global_load_b32 v4, v35, s[12:13] offset:1320
	v_add_nc_u32_e32 v2, 0x400, v35
	ds_load_2addr_b32 v[2:3], v2 offset0:74 offset1:184
	s_wait_dscnt 0x0
	v_lshrrev_b32_e32 v5, 16, v2
	s_wait_loadcnt 0x0
	v_lshrrev_b32_e32 v6, 16, v4
	s_delay_alu instid0(VALU_DEP_1) | instskip(SKIP_1) | instid1(VALU_DEP_2)
	v_mul_f16_e32 v7, v5, v6
	v_mul_f16_e32 v6, v2, v6
	v_fmac_f16_e32 v7, v2, v4
	s_delay_alu instid0(VALU_DEP_2) | instskip(NEXT) | instid1(VALU_DEP_2)
	v_fma_f16 v2, v4, v5, -v6
	v_cvt_f32_f16_e32 v4, v7
	s_delay_alu instid0(VALU_DEP_2) | instskip(NEXT) | instid1(VALU_DEP_2)
	v_cvt_f32_f16_e32 v2, v2
	v_cvt_f64_f32_e32 v[4:5], v4
	s_delay_alu instid0(VALU_DEP_2) | instskip(NEXT) | instid1(VALU_DEP_2)
	v_cvt_f64_f32_e32 v[6:7], v2
	v_mul_f64_e32 v[4:5], s[8:9], v[4:5]
	s_delay_alu instid0(VALU_DEP_2) | instskip(NEXT) | instid1(VALU_DEP_2)
	v_mul_f64_e32 v[6:7], s[8:9], v[6:7]
	v_and_or_b32 v2, 0x1ff, v5, v4
	s_delay_alu instid0(VALU_DEP_2)
	v_and_or_b32 v6, 0x1ff, v7, v6
	v_lshrrev_b32_e32 v4, 8, v5
	v_bfe_u32 v8, v5, 20, 11
	v_lshrrev_b32_e32 v9, 8, v7
	v_cmp_ne_u32_e32 vcc_lo, 0, v2
	v_bfe_u32 v10, v7, 20, 11
	v_lshrrev_b32_e32 v5, 16, v5
	v_sub_nc_u32_e32 v11, 0x3f1, v8
	v_add_nc_u32_e32 v8, 0xfffffc10, v8
	s_wait_alu 0xfffd
	v_cndmask_b32_e64 v2, 0, 1, vcc_lo
	v_cmp_ne_u32_e32 vcc_lo, 0, v6
	v_lshrrev_b32_e32 v7, 16, v7
	s_delay_alu instid0(VALU_DEP_3) | instskip(SKIP_4) | instid1(VALU_DEP_3)
	v_and_or_b32 v2, 0xffe, v4, v2
	s_wait_alu 0xfffd
	v_cndmask_b32_e64 v6, 0, 1, vcc_lo
	v_sub_nc_u32_e32 v4, 0x3f1, v10
	v_add_nc_u32_e32 v10, 0xfffffc10, v10
	v_and_or_b32 v6, 0xffe, v9, v6
	v_med3_i32 v9, v11, 0, 13
	v_or_b32_e32 v11, 0x1000, v2
	v_med3_i32 v4, v4, 0, 13
	s_delay_alu instid0(VALU_DEP_4) | instskip(NEXT) | instid1(VALU_DEP_3)
	v_or_b32_e32 v12, 0x1000, v6
	v_lshrrev_b32_e32 v13, v9, v11
	s_delay_alu instid0(VALU_DEP_2) | instskip(NEXT) | instid1(VALU_DEP_2)
	v_lshrrev_b32_e32 v14, v4, v12
	v_lshlrev_b32_e32 v9, v9, v13
	s_delay_alu instid0(VALU_DEP_2) | instskip(NEXT) | instid1(VALU_DEP_2)
	v_lshlrev_b32_e32 v4, v4, v14
	v_cmp_ne_u32_e32 vcc_lo, v9, v11
	v_lshl_or_b32 v11, v8, 12, v2
	s_wait_alu 0xfffd
	v_cndmask_b32_e64 v9, 0, 1, vcc_lo
	v_cmp_ne_u32_e32 vcc_lo, v4, v12
	v_lshl_or_b32 v12, v10, 12, v6
	s_delay_alu instid0(VALU_DEP_3) | instskip(SKIP_3) | instid1(VALU_DEP_2)
	v_or_b32_e32 v9, v13, v9
	s_wait_alu 0xfffd
	v_cndmask_b32_e64 v4, 0, 1, vcc_lo
	v_cmp_gt_i32_e32 vcc_lo, 1, v8
	v_or_b32_e32 v4, v14, v4
	s_wait_alu 0xfffd
	v_cndmask_b32_e32 v9, v11, v9, vcc_lo
	v_cmp_gt_i32_e32 vcc_lo, 1, v10
	s_wait_alu 0xfffd
	s_delay_alu instid0(VALU_DEP_2) | instskip(SKIP_2) | instid1(VALU_DEP_3)
	v_dual_cndmask_b32 v4, v12, v4 :: v_dual_and_b32 v11, 7, v9
	v_cmp_ne_u32_e32 vcc_lo, 0, v2
	v_lshrrev_b32_e32 v9, 2, v9
	v_cmp_eq_u32_e64 s0, 3, v11
	s_delay_alu instid0(VALU_DEP_4)
	v_and_b32_e32 v12, 7, v4
	s_wait_alu 0xfffd
	v_cndmask_b32_e64 v2, 0, 1, vcc_lo
	v_cmp_ne_u32_e32 vcc_lo, 0, v6
	v_lshrrev_b32_e32 v4, 2, v4
	v_cmp_lt_i32_e64 s1, 5, v12
	v_cmp_eq_u32_e64 s2, 3, v12
	s_wait_alu 0xfffd
	v_cndmask_b32_e64 v6, 0, 1, vcc_lo
	v_cmp_lt_i32_e32 vcc_lo, 5, v11
	v_lshl_or_b32 v2, v2, 9, 0x7c00
	s_delay_alu instid0(VALU_DEP_3)
	v_lshl_or_b32 v6, v6, 9, 0x7c00
	s_or_b32 vcc_lo, s0, vcc_lo
	s_wait_alu 0xfffe
	v_add_co_ci_u32_e32 v9, vcc_lo, 0, v9, vcc_lo
	s_or_b32 vcc_lo, s2, s1
	s_wait_alu 0xfffe
	v_add_co_ci_u32_e32 v4, vcc_lo, 0, v4, vcc_lo
	v_cmp_gt_i32_e32 vcc_lo, 31, v8
	s_wait_alu 0xfffd
	v_cndmask_b32_e32 v9, 0x7c00, v9, vcc_lo
	v_cmp_gt_i32_e32 vcc_lo, 31, v10
	s_wait_alu 0xfffd
	v_cndmask_b32_e32 v4, 0x7c00, v4, vcc_lo
	v_cmp_eq_u32_e32 vcc_lo, 0x40f, v8
	s_wait_alu 0xfffd
	v_cndmask_b32_e32 v2, v9, v2, vcc_lo
	v_cmp_eq_u32_e32 vcc_lo, 0x40f, v10
	s_delay_alu instid0(VALU_DEP_2)
	v_and_or_b32 v2, 0x8000, v5, v2
	s_wait_alu 0xfffd
	v_cndmask_b32_e32 v4, v4, v6, vcc_lo
	v_add_co_u32 v0, vcc_lo, v0, s4
	s_wait_alu 0xfffd
	v_add_co_ci_u32_e32 v1, vcc_lo, s5, v1, vcc_lo
	s_delay_alu instid0(VALU_DEP_3) | instskip(SKIP_1) | instid1(VALU_DEP_1)
	v_and_or_b32 v4, 0x8000, v7, v4
	v_and_b32_e32 v2, 0xffff, v2
	v_lshl_or_b32 v2, v4, 16, v2
	v_lshrrev_b32_e32 v4, 16, v3
	global_store_b32 v[0:1], v2, off
	global_load_b32 v2, v35, s[12:13] offset:1760
	s_wait_loadcnt 0x0
	v_lshrrev_b32_e32 v5, 16, v2
	s_delay_alu instid0(VALU_DEP_1) | instskip(SKIP_1) | instid1(VALU_DEP_2)
	v_mul_f16_e32 v6, v4, v5
	v_mul_f16_e32 v5, v3, v5
	v_fmac_f16_e32 v6, v3, v2
	s_delay_alu instid0(VALU_DEP_2) | instskip(NEXT) | instid1(VALU_DEP_2)
	v_fma_f16 v2, v2, v4, -v5
	v_cvt_f32_f16_e32 v3, v6
	s_delay_alu instid0(VALU_DEP_2) | instskip(NEXT) | instid1(VALU_DEP_2)
	v_cvt_f32_f16_e32 v4, v2
	v_cvt_f64_f32_e32 v[2:3], v3
	s_delay_alu instid0(VALU_DEP_2) | instskip(NEXT) | instid1(VALU_DEP_2)
	v_cvt_f64_f32_e32 v[4:5], v4
	v_mul_f64_e32 v[2:3], s[8:9], v[2:3]
	s_delay_alu instid0(VALU_DEP_2) | instskip(NEXT) | instid1(VALU_DEP_2)
	v_mul_f64_e32 v[4:5], s[8:9], v[4:5]
	v_and_or_b32 v2, 0x1ff, v3, v2
	s_delay_alu instid0(VALU_DEP_2)
	v_and_or_b32 v4, 0x1ff, v5, v4
	v_lshrrev_b32_e32 v6, 8, v3
	v_bfe_u32 v7, v3, 20, 11
	v_lshrrev_b32_e32 v8, 8, v5
	v_cmp_ne_u32_e32 vcc_lo, 0, v2
	v_bfe_u32 v9, v5, 20, 11
	v_lshrrev_b32_e32 v3, 16, v3
	v_sub_nc_u32_e32 v10, 0x3f1, v7
	v_add_nc_u32_e32 v7, 0xfffffc10, v7
	s_wait_alu 0xfffd
	v_cndmask_b32_e64 v2, 0, 1, vcc_lo
	v_cmp_ne_u32_e32 vcc_lo, 0, v4
	v_lshrrev_b32_e32 v5, 16, v5
	s_delay_alu instid0(VALU_DEP_3) | instskip(SKIP_4) | instid1(VALU_DEP_3)
	v_and_or_b32 v2, 0xffe, v6, v2
	s_wait_alu 0xfffd
	v_cndmask_b32_e64 v4, 0, 1, vcc_lo
	v_sub_nc_u32_e32 v6, 0x3f1, v9
	v_add_nc_u32_e32 v9, 0xfffffc10, v9
	v_and_or_b32 v4, 0xffe, v8, v4
	v_med3_i32 v8, v10, 0, 13
	v_or_b32_e32 v10, 0x1000, v2
	v_med3_i32 v6, v6, 0, 13
	s_delay_alu instid0(VALU_DEP_4) | instskip(NEXT) | instid1(VALU_DEP_3)
	v_or_b32_e32 v11, 0x1000, v4
	v_lshrrev_b32_e32 v12, v8, v10
	s_delay_alu instid0(VALU_DEP_2) | instskip(NEXT) | instid1(VALU_DEP_2)
	v_lshrrev_b32_e32 v13, v6, v11
	v_lshlrev_b32_e32 v8, v8, v12
	s_delay_alu instid0(VALU_DEP_2) | instskip(NEXT) | instid1(VALU_DEP_2)
	v_lshlrev_b32_e32 v6, v6, v13
	v_cmp_ne_u32_e32 vcc_lo, v8, v10
	v_lshl_or_b32 v10, v7, 12, v2
	s_wait_alu 0xfffd
	v_cndmask_b32_e64 v8, 0, 1, vcc_lo
	v_cmp_ne_u32_e32 vcc_lo, v6, v11
	v_lshl_or_b32 v11, v9, 12, v4
	s_delay_alu instid0(VALU_DEP_3) | instskip(SKIP_3) | instid1(VALU_DEP_2)
	v_or_b32_e32 v8, v12, v8
	s_wait_alu 0xfffd
	v_cndmask_b32_e64 v6, 0, 1, vcc_lo
	v_cmp_gt_i32_e32 vcc_lo, 1, v7
	v_or_b32_e32 v6, v13, v6
	s_wait_alu 0xfffd
	v_cndmask_b32_e32 v8, v10, v8, vcc_lo
	v_cmp_gt_i32_e32 vcc_lo, 1, v9
	s_delay_alu instid0(VALU_DEP_2)
	v_and_b32_e32 v10, 7, v8
	s_wait_alu 0xfffd
	v_cndmask_b32_e32 v6, v11, v6, vcc_lo
	v_cmp_ne_u32_e32 vcc_lo, 0, v2
	v_lshrrev_b32_e32 v8, 2, v8
	v_cmp_eq_u32_e64 s0, 3, v10
	s_delay_alu instid0(VALU_DEP_4)
	v_and_b32_e32 v11, 7, v6
	s_wait_alu 0xfffd
	v_cndmask_b32_e64 v2, 0, 1, vcc_lo
	v_cmp_ne_u32_e32 vcc_lo, 0, v4
	v_lshrrev_b32_e32 v6, 2, v6
	v_cmp_lt_i32_e64 s1, 5, v11
	v_cmp_eq_u32_e64 s2, 3, v11
	s_wait_alu 0xfffd
	v_cndmask_b32_e64 v4, 0, 1, vcc_lo
	v_cmp_lt_i32_e32 vcc_lo, 5, v10
	v_lshl_or_b32 v2, v2, 9, 0x7c00
	s_delay_alu instid0(VALU_DEP_3)
	v_lshl_or_b32 v4, v4, 9, 0x7c00
	s_or_b32 vcc_lo, s0, vcc_lo
	s_wait_alu 0xfffe
	v_add_co_ci_u32_e32 v8, vcc_lo, 0, v8, vcc_lo
	s_or_b32 vcc_lo, s2, s1
	s_wait_alu 0xfffe
	v_add_co_ci_u32_e32 v6, vcc_lo, 0, v6, vcc_lo
	v_cmp_gt_i32_e32 vcc_lo, 31, v7
	s_wait_alu 0xfffd
	v_cndmask_b32_e32 v8, 0x7c00, v8, vcc_lo
	v_cmp_gt_i32_e32 vcc_lo, 31, v9
	s_wait_alu 0xfffd
	v_cndmask_b32_e32 v6, 0x7c00, v6, vcc_lo
	v_cmp_eq_u32_e32 vcc_lo, 0x40f, v7
	s_wait_alu 0xfffd
	v_cndmask_b32_e32 v2, v8, v2, vcc_lo
	v_cmp_eq_u32_e32 vcc_lo, 0x40f, v9
	s_delay_alu instid0(VALU_DEP_2)
	v_and_or_b32 v2, 0x8000, v3, v2
	s_wait_alu 0xfffd
	v_cndmask_b32_e32 v4, v6, v4, vcc_lo
	v_add_co_u32 v0, vcc_lo, v0, s4
	s_wait_alu 0xfffd
	v_add_co_ci_u32_e32 v1, vcc_lo, s5, v1, vcc_lo
	s_delay_alu instid0(VALU_DEP_3) | instskip(SKIP_1) | instid1(VALU_DEP_1)
	v_and_or_b32 v3, 0x8000, v5, v4
	v_and_b32_e32 v2, 0xffff, v2
	v_lshl_or_b32 v2, v3, 16, v2
	global_store_b32 v[0:1], v2, off
	global_load_b32 v4, v35, s[12:13] offset:2200
	v_add_nc_u32_e32 v2, 0x800, v35
	ds_load_2addr_b32 v[2:3], v2 offset0:38 offset1:148
	s_wait_dscnt 0x0
	v_lshrrev_b32_e32 v5, 16, v2
	s_wait_loadcnt 0x0
	v_lshrrev_b32_e32 v6, 16, v4
	s_delay_alu instid0(VALU_DEP_1) | instskip(SKIP_1) | instid1(VALU_DEP_2)
	v_mul_f16_e32 v7, v5, v6
	v_mul_f16_e32 v6, v2, v6
	v_fmac_f16_e32 v7, v2, v4
	s_delay_alu instid0(VALU_DEP_2) | instskip(NEXT) | instid1(VALU_DEP_2)
	v_fma_f16 v2, v4, v5, -v6
	v_cvt_f32_f16_e32 v4, v7
	s_delay_alu instid0(VALU_DEP_2) | instskip(NEXT) | instid1(VALU_DEP_2)
	v_cvt_f32_f16_e32 v2, v2
	v_cvt_f64_f32_e32 v[4:5], v4
	s_delay_alu instid0(VALU_DEP_2) | instskip(NEXT) | instid1(VALU_DEP_2)
	v_cvt_f64_f32_e32 v[6:7], v2
	v_mul_f64_e32 v[4:5], s[8:9], v[4:5]
	s_delay_alu instid0(VALU_DEP_2) | instskip(NEXT) | instid1(VALU_DEP_2)
	v_mul_f64_e32 v[6:7], s[8:9], v[6:7]
	v_and_or_b32 v2, 0x1ff, v5, v4
	s_delay_alu instid0(VALU_DEP_2)
	v_and_or_b32 v6, 0x1ff, v7, v6
	v_lshrrev_b32_e32 v4, 8, v5
	v_bfe_u32 v8, v5, 20, 11
	v_lshrrev_b32_e32 v9, 8, v7
	v_cmp_ne_u32_e32 vcc_lo, 0, v2
	v_bfe_u32 v10, v7, 20, 11
	v_lshrrev_b32_e32 v5, 16, v5
	v_sub_nc_u32_e32 v11, 0x3f1, v8
	v_add_nc_u32_e32 v8, 0xfffffc10, v8
	s_wait_alu 0xfffd
	v_cndmask_b32_e64 v2, 0, 1, vcc_lo
	v_cmp_ne_u32_e32 vcc_lo, 0, v6
	v_lshrrev_b32_e32 v7, 16, v7
	s_delay_alu instid0(VALU_DEP_3) | instskip(SKIP_4) | instid1(VALU_DEP_3)
	v_and_or_b32 v2, 0xffe, v4, v2
	s_wait_alu 0xfffd
	v_cndmask_b32_e64 v6, 0, 1, vcc_lo
	v_sub_nc_u32_e32 v4, 0x3f1, v10
	v_add_nc_u32_e32 v10, 0xfffffc10, v10
	v_and_or_b32 v6, 0xffe, v9, v6
	v_med3_i32 v9, v11, 0, 13
	v_or_b32_e32 v11, 0x1000, v2
	v_med3_i32 v4, v4, 0, 13
	s_delay_alu instid0(VALU_DEP_4) | instskip(NEXT) | instid1(VALU_DEP_3)
	v_or_b32_e32 v12, 0x1000, v6
	v_lshrrev_b32_e32 v13, v9, v11
	s_delay_alu instid0(VALU_DEP_2) | instskip(NEXT) | instid1(VALU_DEP_2)
	v_lshrrev_b32_e32 v14, v4, v12
	v_lshlrev_b32_e32 v9, v9, v13
	s_delay_alu instid0(VALU_DEP_2) | instskip(NEXT) | instid1(VALU_DEP_2)
	v_lshlrev_b32_e32 v4, v4, v14
	v_cmp_ne_u32_e32 vcc_lo, v9, v11
	v_lshl_or_b32 v11, v8, 12, v2
	s_wait_alu 0xfffd
	v_cndmask_b32_e64 v9, 0, 1, vcc_lo
	v_cmp_ne_u32_e32 vcc_lo, v4, v12
	v_lshl_or_b32 v12, v10, 12, v6
	s_delay_alu instid0(VALU_DEP_3) | instskip(SKIP_3) | instid1(VALU_DEP_2)
	v_or_b32_e32 v9, v13, v9
	s_wait_alu 0xfffd
	v_cndmask_b32_e64 v4, 0, 1, vcc_lo
	v_cmp_gt_i32_e32 vcc_lo, 1, v8
	v_or_b32_e32 v4, v14, v4
	s_wait_alu 0xfffd
	v_cndmask_b32_e32 v9, v11, v9, vcc_lo
	v_cmp_gt_i32_e32 vcc_lo, 1, v10
	s_wait_alu 0xfffd
	s_delay_alu instid0(VALU_DEP_2) | instskip(SKIP_2) | instid1(VALU_DEP_3)
	v_dual_cndmask_b32 v4, v12, v4 :: v_dual_and_b32 v11, 7, v9
	v_cmp_ne_u32_e32 vcc_lo, 0, v2
	v_lshrrev_b32_e32 v9, 2, v9
	v_cmp_eq_u32_e64 s0, 3, v11
	s_delay_alu instid0(VALU_DEP_4)
	v_and_b32_e32 v12, 7, v4
	s_wait_alu 0xfffd
	v_cndmask_b32_e64 v2, 0, 1, vcc_lo
	v_cmp_ne_u32_e32 vcc_lo, 0, v6
	v_lshrrev_b32_e32 v4, 2, v4
	v_cmp_lt_i32_e64 s1, 5, v12
	v_cmp_eq_u32_e64 s2, 3, v12
	s_wait_alu 0xfffd
	v_cndmask_b32_e64 v6, 0, 1, vcc_lo
	v_cmp_lt_i32_e32 vcc_lo, 5, v11
	v_lshl_or_b32 v2, v2, 9, 0x7c00
	s_delay_alu instid0(VALU_DEP_3)
	v_lshl_or_b32 v6, v6, 9, 0x7c00
	s_or_b32 vcc_lo, s0, vcc_lo
	s_wait_alu 0xfffe
	v_add_co_ci_u32_e32 v9, vcc_lo, 0, v9, vcc_lo
	s_or_b32 vcc_lo, s2, s1
	s_wait_alu 0xfffe
	v_add_co_ci_u32_e32 v4, vcc_lo, 0, v4, vcc_lo
	v_cmp_gt_i32_e32 vcc_lo, 31, v8
	s_wait_alu 0xfffd
	v_cndmask_b32_e32 v9, 0x7c00, v9, vcc_lo
	v_cmp_gt_i32_e32 vcc_lo, 31, v10
	s_wait_alu 0xfffd
	v_cndmask_b32_e32 v4, 0x7c00, v4, vcc_lo
	v_cmp_eq_u32_e32 vcc_lo, 0x40f, v8
	s_wait_alu 0xfffd
	v_cndmask_b32_e32 v2, v9, v2, vcc_lo
	v_cmp_eq_u32_e32 vcc_lo, 0x40f, v10
	s_delay_alu instid0(VALU_DEP_2)
	v_and_or_b32 v2, 0x8000, v5, v2
	s_wait_alu 0xfffd
	v_cndmask_b32_e32 v4, v4, v6, vcc_lo
	v_add_co_u32 v0, vcc_lo, v0, s4
	s_wait_alu 0xfffd
	v_add_co_ci_u32_e32 v1, vcc_lo, s5, v1, vcc_lo
	s_delay_alu instid0(VALU_DEP_3) | instskip(SKIP_1) | instid1(VALU_DEP_1)
	v_and_or_b32 v4, 0x8000, v7, v4
	v_and_b32_e32 v2, 0xffff, v2
	v_lshl_or_b32 v2, v4, 16, v2
	v_lshrrev_b32_e32 v4, 16, v3
	global_store_b32 v[0:1], v2, off
	global_load_b32 v2, v35, s[12:13] offset:2640
	s_wait_loadcnt 0x0
	v_lshrrev_b32_e32 v5, 16, v2
	s_delay_alu instid0(VALU_DEP_1) | instskip(SKIP_1) | instid1(VALU_DEP_2)
	v_mul_f16_e32 v6, v4, v5
	v_mul_f16_e32 v5, v3, v5
	v_fmac_f16_e32 v6, v3, v2
	s_delay_alu instid0(VALU_DEP_2) | instskip(NEXT) | instid1(VALU_DEP_2)
	v_fma_f16 v2, v2, v4, -v5
	v_cvt_f32_f16_e32 v3, v6
	s_delay_alu instid0(VALU_DEP_2) | instskip(NEXT) | instid1(VALU_DEP_2)
	v_cvt_f32_f16_e32 v4, v2
	v_cvt_f64_f32_e32 v[2:3], v3
	s_delay_alu instid0(VALU_DEP_2) | instskip(NEXT) | instid1(VALU_DEP_2)
	v_cvt_f64_f32_e32 v[4:5], v4
	v_mul_f64_e32 v[2:3], s[8:9], v[2:3]
	s_delay_alu instid0(VALU_DEP_2) | instskip(NEXT) | instid1(VALU_DEP_2)
	v_mul_f64_e32 v[4:5], s[8:9], v[4:5]
	v_and_or_b32 v2, 0x1ff, v3, v2
	s_delay_alu instid0(VALU_DEP_2)
	v_and_or_b32 v4, 0x1ff, v5, v4
	v_lshrrev_b32_e32 v6, 8, v3
	v_bfe_u32 v7, v3, 20, 11
	v_lshrrev_b32_e32 v8, 8, v5
	v_cmp_ne_u32_e32 vcc_lo, 0, v2
	v_bfe_u32 v9, v5, 20, 11
	v_lshrrev_b32_e32 v3, 16, v3
	v_sub_nc_u32_e32 v10, 0x3f1, v7
	v_add_nc_u32_e32 v7, 0xfffffc10, v7
	s_wait_alu 0xfffd
	v_cndmask_b32_e64 v2, 0, 1, vcc_lo
	v_cmp_ne_u32_e32 vcc_lo, 0, v4
	v_lshrrev_b32_e32 v5, 16, v5
	s_delay_alu instid0(VALU_DEP_3) | instskip(SKIP_4) | instid1(VALU_DEP_3)
	v_and_or_b32 v2, 0xffe, v6, v2
	s_wait_alu 0xfffd
	v_cndmask_b32_e64 v4, 0, 1, vcc_lo
	v_sub_nc_u32_e32 v6, 0x3f1, v9
	v_add_nc_u32_e32 v9, 0xfffffc10, v9
	v_and_or_b32 v4, 0xffe, v8, v4
	v_med3_i32 v8, v10, 0, 13
	v_or_b32_e32 v10, 0x1000, v2
	v_med3_i32 v6, v6, 0, 13
	s_delay_alu instid0(VALU_DEP_4) | instskip(NEXT) | instid1(VALU_DEP_3)
	v_or_b32_e32 v11, 0x1000, v4
	v_lshrrev_b32_e32 v12, v8, v10
	s_delay_alu instid0(VALU_DEP_2) | instskip(NEXT) | instid1(VALU_DEP_2)
	v_lshrrev_b32_e32 v13, v6, v11
	v_lshlrev_b32_e32 v8, v8, v12
	s_delay_alu instid0(VALU_DEP_2) | instskip(NEXT) | instid1(VALU_DEP_2)
	v_lshlrev_b32_e32 v6, v6, v13
	v_cmp_ne_u32_e32 vcc_lo, v8, v10
	v_lshl_or_b32 v10, v7, 12, v2
	s_wait_alu 0xfffd
	v_cndmask_b32_e64 v8, 0, 1, vcc_lo
	v_cmp_ne_u32_e32 vcc_lo, v6, v11
	v_lshl_or_b32 v11, v9, 12, v4
	s_delay_alu instid0(VALU_DEP_3) | instskip(SKIP_3) | instid1(VALU_DEP_2)
	v_or_b32_e32 v8, v12, v8
	s_wait_alu 0xfffd
	v_cndmask_b32_e64 v6, 0, 1, vcc_lo
	v_cmp_gt_i32_e32 vcc_lo, 1, v7
	v_or_b32_e32 v6, v13, v6
	s_wait_alu 0xfffd
	v_cndmask_b32_e32 v8, v10, v8, vcc_lo
	v_cmp_gt_i32_e32 vcc_lo, 1, v9
	s_delay_alu instid0(VALU_DEP_2)
	v_and_b32_e32 v10, 7, v8
	s_wait_alu 0xfffd
	v_cndmask_b32_e32 v6, v11, v6, vcc_lo
	v_cmp_ne_u32_e32 vcc_lo, 0, v2
	v_lshrrev_b32_e32 v8, 2, v8
	v_cmp_eq_u32_e64 s0, 3, v10
	s_delay_alu instid0(VALU_DEP_4)
	v_and_b32_e32 v11, 7, v6
	s_wait_alu 0xfffd
	v_cndmask_b32_e64 v2, 0, 1, vcc_lo
	v_cmp_ne_u32_e32 vcc_lo, 0, v4
	v_lshrrev_b32_e32 v6, 2, v6
	v_cmp_lt_i32_e64 s1, 5, v11
	v_cmp_eq_u32_e64 s2, 3, v11
	s_wait_alu 0xfffd
	v_cndmask_b32_e64 v4, 0, 1, vcc_lo
	v_cmp_lt_i32_e32 vcc_lo, 5, v10
	v_lshl_or_b32 v2, v2, 9, 0x7c00
	s_delay_alu instid0(VALU_DEP_3)
	v_lshl_or_b32 v4, v4, 9, 0x7c00
	s_or_b32 vcc_lo, s0, vcc_lo
	s_wait_alu 0xfffe
	v_add_co_ci_u32_e32 v8, vcc_lo, 0, v8, vcc_lo
	s_or_b32 vcc_lo, s2, s1
	s_wait_alu 0xfffe
	v_add_co_ci_u32_e32 v6, vcc_lo, 0, v6, vcc_lo
	v_cmp_gt_i32_e32 vcc_lo, 31, v7
	s_wait_alu 0xfffd
	v_cndmask_b32_e32 v8, 0x7c00, v8, vcc_lo
	v_cmp_gt_i32_e32 vcc_lo, 31, v9
	s_wait_alu 0xfffd
	v_cndmask_b32_e32 v6, 0x7c00, v6, vcc_lo
	v_cmp_eq_u32_e32 vcc_lo, 0x40f, v7
	s_wait_alu 0xfffd
	v_cndmask_b32_e32 v2, v8, v2, vcc_lo
	v_cmp_eq_u32_e32 vcc_lo, 0x40f, v9
	s_delay_alu instid0(VALU_DEP_2)
	v_and_or_b32 v2, 0x8000, v3, v2
	s_wait_alu 0xfffd
	v_cndmask_b32_e32 v4, v6, v4, vcc_lo
	v_add_co_u32 v0, vcc_lo, v0, s4
	s_wait_alu 0xfffd
	v_add_co_ci_u32_e32 v1, vcc_lo, s5, v1, vcc_lo
	s_delay_alu instid0(VALU_DEP_3) | instskip(SKIP_1) | instid1(VALU_DEP_1)
	v_and_or_b32 v3, 0x8000, v5, v4
	v_and_b32_e32 v2, 0xffff, v2
	v_lshl_or_b32 v2, v3, 16, v2
	global_store_b32 v[0:1], v2, off
	global_load_b32 v4, v35, s[12:13] offset:3080
	v_add_nc_u32_e32 v2, 0xc00, v35
	ds_load_2addr_b32 v[2:3], v2 offset0:2 offset1:112
	s_wait_dscnt 0x0
	v_lshrrev_b32_e32 v5, 16, v2
	s_wait_loadcnt 0x0
	v_lshrrev_b32_e32 v6, 16, v4
	s_delay_alu instid0(VALU_DEP_1) | instskip(SKIP_1) | instid1(VALU_DEP_2)
	v_mul_f16_e32 v7, v5, v6
	v_mul_f16_e32 v6, v2, v6
	v_fmac_f16_e32 v7, v2, v4
	s_delay_alu instid0(VALU_DEP_2) | instskip(NEXT) | instid1(VALU_DEP_2)
	v_fma_f16 v2, v4, v5, -v6
	v_cvt_f32_f16_e32 v4, v7
	s_delay_alu instid0(VALU_DEP_2) | instskip(NEXT) | instid1(VALU_DEP_2)
	v_cvt_f32_f16_e32 v2, v2
	v_cvt_f64_f32_e32 v[4:5], v4
	s_delay_alu instid0(VALU_DEP_2) | instskip(NEXT) | instid1(VALU_DEP_2)
	v_cvt_f64_f32_e32 v[6:7], v2
	v_mul_f64_e32 v[4:5], s[8:9], v[4:5]
	s_delay_alu instid0(VALU_DEP_2) | instskip(NEXT) | instid1(VALU_DEP_2)
	v_mul_f64_e32 v[6:7], s[8:9], v[6:7]
	v_and_or_b32 v2, 0x1ff, v5, v4
	s_delay_alu instid0(VALU_DEP_2)
	v_and_or_b32 v6, 0x1ff, v7, v6
	v_lshrrev_b32_e32 v4, 8, v5
	v_bfe_u32 v8, v5, 20, 11
	v_lshrrev_b32_e32 v9, 8, v7
	v_cmp_ne_u32_e32 vcc_lo, 0, v2
	v_bfe_u32 v10, v7, 20, 11
	v_lshrrev_b32_e32 v5, 16, v5
	v_sub_nc_u32_e32 v11, 0x3f1, v8
	v_add_nc_u32_e32 v8, 0xfffffc10, v8
	s_wait_alu 0xfffd
	v_cndmask_b32_e64 v2, 0, 1, vcc_lo
	v_cmp_ne_u32_e32 vcc_lo, 0, v6
	v_lshrrev_b32_e32 v7, 16, v7
	s_delay_alu instid0(VALU_DEP_3) | instskip(SKIP_4) | instid1(VALU_DEP_3)
	v_and_or_b32 v2, 0xffe, v4, v2
	s_wait_alu 0xfffd
	v_cndmask_b32_e64 v6, 0, 1, vcc_lo
	v_sub_nc_u32_e32 v4, 0x3f1, v10
	v_add_nc_u32_e32 v10, 0xfffffc10, v10
	v_and_or_b32 v6, 0xffe, v9, v6
	v_med3_i32 v9, v11, 0, 13
	v_or_b32_e32 v11, 0x1000, v2
	v_med3_i32 v4, v4, 0, 13
	s_delay_alu instid0(VALU_DEP_4) | instskip(NEXT) | instid1(VALU_DEP_3)
	v_or_b32_e32 v12, 0x1000, v6
	v_lshrrev_b32_e32 v13, v9, v11
	s_delay_alu instid0(VALU_DEP_2) | instskip(NEXT) | instid1(VALU_DEP_2)
	v_lshrrev_b32_e32 v14, v4, v12
	v_lshlrev_b32_e32 v9, v9, v13
	s_delay_alu instid0(VALU_DEP_2) | instskip(NEXT) | instid1(VALU_DEP_2)
	v_lshlrev_b32_e32 v4, v4, v14
	v_cmp_ne_u32_e32 vcc_lo, v9, v11
	v_lshl_or_b32 v11, v8, 12, v2
	s_wait_alu 0xfffd
	v_cndmask_b32_e64 v9, 0, 1, vcc_lo
	v_cmp_ne_u32_e32 vcc_lo, v4, v12
	v_lshl_or_b32 v12, v10, 12, v6
	s_delay_alu instid0(VALU_DEP_3) | instskip(SKIP_3) | instid1(VALU_DEP_2)
	v_or_b32_e32 v9, v13, v9
	s_wait_alu 0xfffd
	v_cndmask_b32_e64 v4, 0, 1, vcc_lo
	v_cmp_gt_i32_e32 vcc_lo, 1, v8
	v_or_b32_e32 v4, v14, v4
	s_wait_alu 0xfffd
	v_cndmask_b32_e32 v9, v11, v9, vcc_lo
	v_cmp_gt_i32_e32 vcc_lo, 1, v10
	s_wait_alu 0xfffd
	s_delay_alu instid0(VALU_DEP_2) | instskip(SKIP_2) | instid1(VALU_DEP_3)
	v_dual_cndmask_b32 v4, v12, v4 :: v_dual_and_b32 v11, 7, v9
	v_cmp_ne_u32_e32 vcc_lo, 0, v2
	v_lshrrev_b32_e32 v9, 2, v9
	v_cmp_eq_u32_e64 s0, 3, v11
	s_delay_alu instid0(VALU_DEP_4)
	v_and_b32_e32 v12, 7, v4
	s_wait_alu 0xfffd
	v_cndmask_b32_e64 v2, 0, 1, vcc_lo
	v_cmp_ne_u32_e32 vcc_lo, 0, v6
	v_lshrrev_b32_e32 v4, 2, v4
	v_cmp_lt_i32_e64 s1, 5, v12
	v_cmp_eq_u32_e64 s2, 3, v12
	s_wait_alu 0xfffd
	v_cndmask_b32_e64 v6, 0, 1, vcc_lo
	v_cmp_lt_i32_e32 vcc_lo, 5, v11
	v_lshl_or_b32 v2, v2, 9, 0x7c00
	s_delay_alu instid0(VALU_DEP_3)
	v_lshl_or_b32 v6, v6, 9, 0x7c00
	s_or_b32 vcc_lo, s0, vcc_lo
	s_wait_alu 0xfffe
	v_add_co_ci_u32_e32 v9, vcc_lo, 0, v9, vcc_lo
	s_or_b32 vcc_lo, s2, s1
	s_wait_alu 0xfffe
	v_add_co_ci_u32_e32 v4, vcc_lo, 0, v4, vcc_lo
	v_cmp_gt_i32_e32 vcc_lo, 31, v8
	s_wait_alu 0xfffd
	v_cndmask_b32_e32 v9, 0x7c00, v9, vcc_lo
	v_cmp_gt_i32_e32 vcc_lo, 31, v10
	s_wait_alu 0xfffd
	v_cndmask_b32_e32 v4, 0x7c00, v4, vcc_lo
	v_cmp_eq_u32_e32 vcc_lo, 0x40f, v8
	s_wait_alu 0xfffd
	v_cndmask_b32_e32 v2, v9, v2, vcc_lo
	v_cmp_eq_u32_e32 vcc_lo, 0x40f, v10
	s_delay_alu instid0(VALU_DEP_2)
	v_and_or_b32 v2, 0x8000, v5, v2
	s_wait_alu 0xfffd
	v_cndmask_b32_e32 v4, v4, v6, vcc_lo
	v_add_co_u32 v0, vcc_lo, v0, s4
	s_wait_alu 0xfffd
	v_add_co_ci_u32_e32 v1, vcc_lo, s5, v1, vcc_lo
	s_delay_alu instid0(VALU_DEP_3) | instskip(SKIP_1) | instid1(VALU_DEP_1)
	v_and_or_b32 v4, 0x8000, v7, v4
	v_and_b32_e32 v2, 0xffff, v2
	v_lshl_or_b32 v2, v4, 16, v2
	v_lshrrev_b32_e32 v4, 16, v3
	global_store_b32 v[0:1], v2, off
	global_load_b32 v2, v35, s[12:13] offset:3520
	s_wait_loadcnt 0x0
	v_lshrrev_b32_e32 v5, 16, v2
	s_delay_alu instid0(VALU_DEP_1) | instskip(SKIP_1) | instid1(VALU_DEP_2)
	v_mul_f16_e32 v6, v4, v5
	v_mul_f16_e32 v5, v3, v5
	v_fmac_f16_e32 v6, v3, v2
	s_delay_alu instid0(VALU_DEP_2) | instskip(NEXT) | instid1(VALU_DEP_2)
	v_fma_f16 v2, v2, v4, -v5
	v_cvt_f32_f16_e32 v3, v6
	s_delay_alu instid0(VALU_DEP_2) | instskip(NEXT) | instid1(VALU_DEP_2)
	v_cvt_f32_f16_e32 v4, v2
	v_cvt_f64_f32_e32 v[2:3], v3
	s_delay_alu instid0(VALU_DEP_2) | instskip(NEXT) | instid1(VALU_DEP_2)
	v_cvt_f64_f32_e32 v[4:5], v4
	v_mul_f64_e32 v[2:3], s[8:9], v[2:3]
	s_delay_alu instid0(VALU_DEP_2) | instskip(NEXT) | instid1(VALU_DEP_2)
	v_mul_f64_e32 v[4:5], s[8:9], v[4:5]
	v_and_or_b32 v2, 0x1ff, v3, v2
	s_delay_alu instid0(VALU_DEP_2)
	v_and_or_b32 v4, 0x1ff, v5, v4
	v_lshrrev_b32_e32 v6, 8, v3
	v_bfe_u32 v7, v3, 20, 11
	v_lshrrev_b32_e32 v8, 8, v5
	v_cmp_ne_u32_e32 vcc_lo, 0, v2
	v_bfe_u32 v9, v5, 20, 11
	v_lshrrev_b32_e32 v3, 16, v3
	v_sub_nc_u32_e32 v10, 0x3f1, v7
	v_add_nc_u32_e32 v7, 0xfffffc10, v7
	s_wait_alu 0xfffd
	v_cndmask_b32_e64 v2, 0, 1, vcc_lo
	v_cmp_ne_u32_e32 vcc_lo, 0, v4
	v_lshrrev_b32_e32 v5, 16, v5
	s_delay_alu instid0(VALU_DEP_3) | instskip(SKIP_4) | instid1(VALU_DEP_3)
	v_and_or_b32 v2, 0xffe, v6, v2
	s_wait_alu 0xfffd
	v_cndmask_b32_e64 v4, 0, 1, vcc_lo
	v_sub_nc_u32_e32 v6, 0x3f1, v9
	v_add_nc_u32_e32 v9, 0xfffffc10, v9
	v_and_or_b32 v4, 0xffe, v8, v4
	v_med3_i32 v8, v10, 0, 13
	v_or_b32_e32 v10, 0x1000, v2
	v_med3_i32 v6, v6, 0, 13
	s_delay_alu instid0(VALU_DEP_4) | instskip(NEXT) | instid1(VALU_DEP_3)
	v_or_b32_e32 v11, 0x1000, v4
	v_lshrrev_b32_e32 v12, v8, v10
	s_delay_alu instid0(VALU_DEP_2) | instskip(NEXT) | instid1(VALU_DEP_2)
	v_lshrrev_b32_e32 v13, v6, v11
	v_lshlrev_b32_e32 v8, v8, v12
	s_delay_alu instid0(VALU_DEP_2) | instskip(NEXT) | instid1(VALU_DEP_2)
	v_lshlrev_b32_e32 v6, v6, v13
	v_cmp_ne_u32_e32 vcc_lo, v8, v10
	v_lshl_or_b32 v10, v7, 12, v2
	s_wait_alu 0xfffd
	v_cndmask_b32_e64 v8, 0, 1, vcc_lo
	v_cmp_ne_u32_e32 vcc_lo, v6, v11
	v_lshl_or_b32 v11, v9, 12, v4
	s_delay_alu instid0(VALU_DEP_3) | instskip(SKIP_3) | instid1(VALU_DEP_2)
	v_or_b32_e32 v8, v12, v8
	s_wait_alu 0xfffd
	v_cndmask_b32_e64 v6, 0, 1, vcc_lo
	v_cmp_gt_i32_e32 vcc_lo, 1, v7
	v_or_b32_e32 v6, v13, v6
	s_wait_alu 0xfffd
	v_cndmask_b32_e32 v8, v10, v8, vcc_lo
	v_cmp_gt_i32_e32 vcc_lo, 1, v9
	s_delay_alu instid0(VALU_DEP_2)
	v_and_b32_e32 v10, 7, v8
	s_wait_alu 0xfffd
	v_cndmask_b32_e32 v6, v11, v6, vcc_lo
	v_cmp_ne_u32_e32 vcc_lo, 0, v2
	v_lshrrev_b32_e32 v8, 2, v8
	v_cmp_eq_u32_e64 s0, 3, v10
	s_delay_alu instid0(VALU_DEP_4)
	v_and_b32_e32 v11, 7, v6
	s_wait_alu 0xfffd
	v_cndmask_b32_e64 v2, 0, 1, vcc_lo
	v_cmp_ne_u32_e32 vcc_lo, 0, v4
	v_lshrrev_b32_e32 v6, 2, v6
	v_cmp_lt_i32_e64 s1, 5, v11
	v_cmp_eq_u32_e64 s2, 3, v11
	s_wait_alu 0xfffd
	v_cndmask_b32_e64 v4, 0, 1, vcc_lo
	v_cmp_lt_i32_e32 vcc_lo, 5, v10
	v_lshl_or_b32 v2, v2, 9, 0x7c00
	s_delay_alu instid0(VALU_DEP_3)
	v_lshl_or_b32 v4, v4, 9, 0x7c00
	s_or_b32 vcc_lo, s0, vcc_lo
	s_wait_alu 0xfffe
	v_add_co_ci_u32_e32 v8, vcc_lo, 0, v8, vcc_lo
	s_or_b32 vcc_lo, s2, s1
	s_wait_alu 0xfffe
	v_add_co_ci_u32_e32 v6, vcc_lo, 0, v6, vcc_lo
	v_cmp_gt_i32_e32 vcc_lo, 31, v7
	s_wait_alu 0xfffd
	v_cndmask_b32_e32 v8, 0x7c00, v8, vcc_lo
	v_cmp_gt_i32_e32 vcc_lo, 31, v9
	s_wait_alu 0xfffd
	v_cndmask_b32_e32 v6, 0x7c00, v6, vcc_lo
	v_cmp_eq_u32_e32 vcc_lo, 0x40f, v7
	s_wait_alu 0xfffd
	v_cndmask_b32_e32 v2, v8, v2, vcc_lo
	v_cmp_eq_u32_e32 vcc_lo, 0x40f, v9
	s_delay_alu instid0(VALU_DEP_2)
	v_and_or_b32 v2, 0x8000, v3, v2
	s_wait_alu 0xfffd
	v_cndmask_b32_e32 v4, v6, v4, vcc_lo
	v_add_co_u32 v0, vcc_lo, v0, s4
	s_wait_alu 0xfffd
	v_add_co_ci_u32_e32 v1, vcc_lo, s5, v1, vcc_lo
	s_delay_alu instid0(VALU_DEP_3) | instskip(SKIP_1) | instid1(VALU_DEP_1)
	v_and_or_b32 v3, 0x8000, v5, v4
	v_and_b32_e32 v2, 0xffff, v2
	v_lshl_or_b32 v2, v3, 16, v2
	global_store_b32 v[0:1], v2, off
	global_load_b32 v4, v35, s[12:13] offset:3960
	v_add_nc_u32_e32 v2, 0xe00, v35
	ds_load_2addr_b32 v[2:3], v2 offset0:94 offset1:204
	s_wait_dscnt 0x0
	v_lshrrev_b32_e32 v5, 16, v2
	s_wait_loadcnt 0x0
	v_lshrrev_b32_e32 v6, 16, v4
	s_delay_alu instid0(VALU_DEP_1) | instskip(SKIP_1) | instid1(VALU_DEP_2)
	v_mul_f16_e32 v7, v5, v6
	v_mul_f16_e32 v6, v2, v6
	v_fmac_f16_e32 v7, v2, v4
	s_delay_alu instid0(VALU_DEP_2) | instskip(NEXT) | instid1(VALU_DEP_2)
	v_fma_f16 v2, v4, v5, -v6
	v_cvt_f32_f16_e32 v4, v7
	s_delay_alu instid0(VALU_DEP_2) | instskip(NEXT) | instid1(VALU_DEP_2)
	v_cvt_f32_f16_e32 v2, v2
	v_cvt_f64_f32_e32 v[4:5], v4
	s_delay_alu instid0(VALU_DEP_2) | instskip(NEXT) | instid1(VALU_DEP_2)
	v_cvt_f64_f32_e32 v[6:7], v2
	v_mul_f64_e32 v[4:5], s[8:9], v[4:5]
	s_delay_alu instid0(VALU_DEP_2) | instskip(NEXT) | instid1(VALU_DEP_2)
	v_mul_f64_e32 v[6:7], s[8:9], v[6:7]
	v_and_or_b32 v2, 0x1ff, v5, v4
	s_delay_alu instid0(VALU_DEP_2)
	v_and_or_b32 v6, 0x1ff, v7, v6
	v_lshrrev_b32_e32 v4, 8, v5
	v_bfe_u32 v8, v5, 20, 11
	v_lshrrev_b32_e32 v9, 8, v7
	v_cmp_ne_u32_e32 vcc_lo, 0, v2
	v_bfe_u32 v10, v7, 20, 11
	v_lshrrev_b32_e32 v5, 16, v5
	v_sub_nc_u32_e32 v11, 0x3f1, v8
	v_add_nc_u32_e32 v8, 0xfffffc10, v8
	s_wait_alu 0xfffd
	v_cndmask_b32_e64 v2, 0, 1, vcc_lo
	v_cmp_ne_u32_e32 vcc_lo, 0, v6
	v_lshrrev_b32_e32 v7, 16, v7
	s_delay_alu instid0(VALU_DEP_3) | instskip(SKIP_4) | instid1(VALU_DEP_3)
	v_and_or_b32 v2, 0xffe, v4, v2
	s_wait_alu 0xfffd
	v_cndmask_b32_e64 v6, 0, 1, vcc_lo
	v_sub_nc_u32_e32 v4, 0x3f1, v10
	v_add_nc_u32_e32 v10, 0xfffffc10, v10
	v_and_or_b32 v6, 0xffe, v9, v6
	v_med3_i32 v9, v11, 0, 13
	v_or_b32_e32 v11, 0x1000, v2
	v_med3_i32 v4, v4, 0, 13
	s_delay_alu instid0(VALU_DEP_4) | instskip(NEXT) | instid1(VALU_DEP_3)
	v_or_b32_e32 v12, 0x1000, v6
	v_lshrrev_b32_e32 v13, v9, v11
	s_delay_alu instid0(VALU_DEP_2) | instskip(NEXT) | instid1(VALU_DEP_2)
	v_lshrrev_b32_e32 v14, v4, v12
	v_lshlrev_b32_e32 v9, v9, v13
	s_delay_alu instid0(VALU_DEP_2) | instskip(NEXT) | instid1(VALU_DEP_2)
	v_lshlrev_b32_e32 v4, v4, v14
	v_cmp_ne_u32_e32 vcc_lo, v9, v11
	v_lshl_or_b32 v11, v8, 12, v2
	s_wait_alu 0xfffd
	v_cndmask_b32_e64 v9, 0, 1, vcc_lo
	v_cmp_ne_u32_e32 vcc_lo, v4, v12
	v_lshl_or_b32 v12, v10, 12, v6
	s_delay_alu instid0(VALU_DEP_3) | instskip(SKIP_3) | instid1(VALU_DEP_2)
	v_or_b32_e32 v9, v13, v9
	s_wait_alu 0xfffd
	v_cndmask_b32_e64 v4, 0, 1, vcc_lo
	v_cmp_gt_i32_e32 vcc_lo, 1, v8
	v_or_b32_e32 v4, v14, v4
	s_wait_alu 0xfffd
	v_cndmask_b32_e32 v9, v11, v9, vcc_lo
	v_cmp_gt_i32_e32 vcc_lo, 1, v10
	s_wait_alu 0xfffd
	s_delay_alu instid0(VALU_DEP_2) | instskip(SKIP_2) | instid1(VALU_DEP_3)
	v_dual_cndmask_b32 v4, v12, v4 :: v_dual_and_b32 v11, 7, v9
	v_cmp_ne_u32_e32 vcc_lo, 0, v2
	v_lshrrev_b32_e32 v9, 2, v9
	v_cmp_eq_u32_e64 s0, 3, v11
	s_delay_alu instid0(VALU_DEP_4)
	v_and_b32_e32 v12, 7, v4
	s_wait_alu 0xfffd
	v_cndmask_b32_e64 v2, 0, 1, vcc_lo
	v_cmp_ne_u32_e32 vcc_lo, 0, v6
	v_lshrrev_b32_e32 v4, 2, v4
	v_cmp_lt_i32_e64 s1, 5, v12
	v_cmp_eq_u32_e64 s2, 3, v12
	s_wait_alu 0xfffd
	v_cndmask_b32_e64 v6, 0, 1, vcc_lo
	v_cmp_lt_i32_e32 vcc_lo, 5, v11
	v_lshl_or_b32 v2, v2, 9, 0x7c00
	s_delay_alu instid0(VALU_DEP_3)
	v_lshl_or_b32 v6, v6, 9, 0x7c00
	s_or_b32 vcc_lo, s0, vcc_lo
	s_wait_alu 0xfffe
	v_add_co_ci_u32_e32 v9, vcc_lo, 0, v9, vcc_lo
	s_or_b32 vcc_lo, s2, s1
	s_wait_alu 0xfffe
	v_add_co_ci_u32_e32 v4, vcc_lo, 0, v4, vcc_lo
	v_cmp_gt_i32_e32 vcc_lo, 31, v8
	s_wait_alu 0xfffd
	v_cndmask_b32_e32 v9, 0x7c00, v9, vcc_lo
	v_cmp_gt_i32_e32 vcc_lo, 31, v10
	s_wait_alu 0xfffd
	v_cndmask_b32_e32 v4, 0x7c00, v4, vcc_lo
	v_cmp_eq_u32_e32 vcc_lo, 0x40f, v8
	s_wait_alu 0xfffd
	v_cndmask_b32_e32 v2, v9, v2, vcc_lo
	v_cmp_eq_u32_e32 vcc_lo, 0x40f, v10
	s_delay_alu instid0(VALU_DEP_2)
	v_and_or_b32 v2, 0x8000, v5, v2
	s_wait_alu 0xfffd
	v_cndmask_b32_e32 v4, v4, v6, vcc_lo
	v_add_co_u32 v0, vcc_lo, v0, s4
	s_wait_alu 0xfffd
	v_add_co_ci_u32_e32 v1, vcc_lo, s5, v1, vcc_lo
	s_delay_alu instid0(VALU_DEP_3) | instskip(SKIP_1) | instid1(VALU_DEP_1)
	v_and_or_b32 v4, 0x8000, v7, v4
	v_and_b32_e32 v2, 0xffff, v2
	v_lshl_or_b32 v2, v4, 16, v2
	v_lshrrev_b32_e32 v4, 16, v3
	global_store_b32 v[0:1], v2, off
	global_load_b32 v2, v35, s[12:13] offset:4400
	s_wait_loadcnt 0x0
	v_lshrrev_b32_e32 v5, 16, v2
	s_delay_alu instid0(VALU_DEP_1) | instskip(SKIP_1) | instid1(VALU_DEP_2)
	v_mul_f16_e32 v6, v4, v5
	v_mul_f16_e32 v5, v3, v5
	v_fmac_f16_e32 v6, v3, v2
	s_delay_alu instid0(VALU_DEP_2) | instskip(NEXT) | instid1(VALU_DEP_2)
	v_fma_f16 v2, v2, v4, -v5
	v_cvt_f32_f16_e32 v3, v6
	s_delay_alu instid0(VALU_DEP_2) | instskip(NEXT) | instid1(VALU_DEP_2)
	v_cvt_f32_f16_e32 v4, v2
	v_cvt_f64_f32_e32 v[2:3], v3
	s_delay_alu instid0(VALU_DEP_2) | instskip(NEXT) | instid1(VALU_DEP_2)
	v_cvt_f64_f32_e32 v[4:5], v4
	v_mul_f64_e32 v[2:3], s[8:9], v[2:3]
	s_delay_alu instid0(VALU_DEP_2) | instskip(NEXT) | instid1(VALU_DEP_2)
	v_mul_f64_e32 v[4:5], s[8:9], v[4:5]
	v_and_or_b32 v2, 0x1ff, v3, v2
	s_delay_alu instid0(VALU_DEP_2)
	v_and_or_b32 v4, 0x1ff, v5, v4
	v_lshrrev_b32_e32 v6, 8, v3
	v_bfe_u32 v7, v3, 20, 11
	v_lshrrev_b32_e32 v8, 8, v5
	v_cmp_ne_u32_e32 vcc_lo, 0, v2
	v_bfe_u32 v9, v5, 20, 11
	v_lshrrev_b32_e32 v3, 16, v3
	v_sub_nc_u32_e32 v10, 0x3f1, v7
	v_add_nc_u32_e32 v7, 0xfffffc10, v7
	s_wait_alu 0xfffd
	v_cndmask_b32_e64 v2, 0, 1, vcc_lo
	v_cmp_ne_u32_e32 vcc_lo, 0, v4
	v_lshrrev_b32_e32 v5, 16, v5
	s_delay_alu instid0(VALU_DEP_3) | instskip(SKIP_4) | instid1(VALU_DEP_3)
	v_and_or_b32 v2, 0xffe, v6, v2
	s_wait_alu 0xfffd
	v_cndmask_b32_e64 v4, 0, 1, vcc_lo
	v_sub_nc_u32_e32 v6, 0x3f1, v9
	v_add_nc_u32_e32 v9, 0xfffffc10, v9
	v_and_or_b32 v4, 0xffe, v8, v4
	v_med3_i32 v8, v10, 0, 13
	v_or_b32_e32 v10, 0x1000, v2
	v_med3_i32 v6, v6, 0, 13
	s_delay_alu instid0(VALU_DEP_4) | instskip(NEXT) | instid1(VALU_DEP_3)
	v_or_b32_e32 v11, 0x1000, v4
	v_lshrrev_b32_e32 v12, v8, v10
	s_delay_alu instid0(VALU_DEP_2) | instskip(NEXT) | instid1(VALU_DEP_2)
	v_lshrrev_b32_e32 v13, v6, v11
	v_lshlrev_b32_e32 v8, v8, v12
	s_delay_alu instid0(VALU_DEP_2) | instskip(NEXT) | instid1(VALU_DEP_2)
	v_lshlrev_b32_e32 v6, v6, v13
	v_cmp_ne_u32_e32 vcc_lo, v8, v10
	v_lshl_or_b32 v10, v7, 12, v2
	s_wait_alu 0xfffd
	v_cndmask_b32_e64 v8, 0, 1, vcc_lo
	v_cmp_ne_u32_e32 vcc_lo, v6, v11
	v_lshl_or_b32 v11, v9, 12, v4
	s_delay_alu instid0(VALU_DEP_3) | instskip(SKIP_3) | instid1(VALU_DEP_2)
	v_or_b32_e32 v8, v12, v8
	s_wait_alu 0xfffd
	v_cndmask_b32_e64 v6, 0, 1, vcc_lo
	v_cmp_gt_i32_e32 vcc_lo, 1, v7
	v_or_b32_e32 v6, v13, v6
	s_wait_alu 0xfffd
	v_cndmask_b32_e32 v8, v10, v8, vcc_lo
	v_cmp_gt_i32_e32 vcc_lo, 1, v9
	s_delay_alu instid0(VALU_DEP_2)
	v_and_b32_e32 v10, 7, v8
	s_wait_alu 0xfffd
	v_cndmask_b32_e32 v6, v11, v6, vcc_lo
	v_cmp_ne_u32_e32 vcc_lo, 0, v2
	v_lshrrev_b32_e32 v8, 2, v8
	v_cmp_eq_u32_e64 s0, 3, v10
	s_delay_alu instid0(VALU_DEP_4)
	v_and_b32_e32 v11, 7, v6
	s_wait_alu 0xfffd
	v_cndmask_b32_e64 v2, 0, 1, vcc_lo
	v_cmp_ne_u32_e32 vcc_lo, 0, v4
	v_lshrrev_b32_e32 v6, 2, v6
	v_cmp_lt_i32_e64 s1, 5, v11
	v_cmp_eq_u32_e64 s2, 3, v11
	s_wait_alu 0xfffd
	v_cndmask_b32_e64 v4, 0, 1, vcc_lo
	v_cmp_lt_i32_e32 vcc_lo, 5, v10
	v_lshl_or_b32 v2, v2, 9, 0x7c00
	s_delay_alu instid0(VALU_DEP_3)
	v_lshl_or_b32 v4, v4, 9, 0x7c00
	s_or_b32 vcc_lo, s0, vcc_lo
	s_wait_alu 0xfffe
	v_add_co_ci_u32_e32 v8, vcc_lo, 0, v8, vcc_lo
	s_or_b32 vcc_lo, s2, s1
	s_wait_alu 0xfffe
	v_add_co_ci_u32_e32 v6, vcc_lo, 0, v6, vcc_lo
	v_cmp_gt_i32_e32 vcc_lo, 31, v7
	s_wait_alu 0xfffd
	v_cndmask_b32_e32 v8, 0x7c00, v8, vcc_lo
	v_cmp_gt_i32_e32 vcc_lo, 31, v9
	s_wait_alu 0xfffd
	v_cndmask_b32_e32 v6, 0x7c00, v6, vcc_lo
	v_cmp_eq_u32_e32 vcc_lo, 0x40f, v7
	s_wait_alu 0xfffd
	v_cndmask_b32_e32 v2, v8, v2, vcc_lo
	v_cmp_eq_u32_e32 vcc_lo, 0x40f, v9
	s_delay_alu instid0(VALU_DEP_2)
	v_and_or_b32 v2, 0x8000, v3, v2
	s_wait_alu 0xfffd
	v_cndmask_b32_e32 v4, v6, v4, vcc_lo
	v_add_co_u32 v0, vcc_lo, v0, s4
	s_wait_alu 0xfffd
	v_add_co_ci_u32_e32 v1, vcc_lo, s5, v1, vcc_lo
	s_delay_alu instid0(VALU_DEP_3) | instskip(SKIP_1) | instid1(VALU_DEP_1)
	v_and_or_b32 v3, 0x8000, v5, v4
	v_and_b32_e32 v2, 0xffff, v2
	v_lshl_or_b32 v2, v3, 16, v2
	global_store_b32 v[0:1], v2, off
	global_load_b32 v4, v35, s[12:13] offset:4840
	v_add_nc_u32_e32 v2, 0x1200, v35
	ds_load_2addr_b32 v[2:3], v2 offset0:58 offset1:168
	s_wait_dscnt 0x0
	v_lshrrev_b32_e32 v5, 16, v2
	s_wait_loadcnt 0x0
	v_lshrrev_b32_e32 v6, 16, v4
	s_delay_alu instid0(VALU_DEP_1) | instskip(SKIP_1) | instid1(VALU_DEP_2)
	v_mul_f16_e32 v7, v5, v6
	v_mul_f16_e32 v6, v2, v6
	v_fmac_f16_e32 v7, v2, v4
	s_delay_alu instid0(VALU_DEP_2) | instskip(NEXT) | instid1(VALU_DEP_2)
	v_fma_f16 v2, v4, v5, -v6
	v_cvt_f32_f16_e32 v4, v7
	s_delay_alu instid0(VALU_DEP_2) | instskip(NEXT) | instid1(VALU_DEP_2)
	v_cvt_f32_f16_e32 v2, v2
	v_cvt_f64_f32_e32 v[4:5], v4
	s_delay_alu instid0(VALU_DEP_2) | instskip(NEXT) | instid1(VALU_DEP_2)
	v_cvt_f64_f32_e32 v[6:7], v2
	v_mul_f64_e32 v[4:5], s[8:9], v[4:5]
	s_delay_alu instid0(VALU_DEP_2) | instskip(NEXT) | instid1(VALU_DEP_2)
	v_mul_f64_e32 v[6:7], s[8:9], v[6:7]
	v_and_or_b32 v2, 0x1ff, v5, v4
	s_delay_alu instid0(VALU_DEP_2)
	v_and_or_b32 v6, 0x1ff, v7, v6
	v_lshrrev_b32_e32 v4, 8, v5
	v_bfe_u32 v8, v5, 20, 11
	v_lshrrev_b32_e32 v9, 8, v7
	v_cmp_ne_u32_e32 vcc_lo, 0, v2
	v_bfe_u32 v10, v7, 20, 11
	v_lshrrev_b32_e32 v5, 16, v5
	v_sub_nc_u32_e32 v11, 0x3f1, v8
	v_add_nc_u32_e32 v8, 0xfffffc10, v8
	s_wait_alu 0xfffd
	v_cndmask_b32_e64 v2, 0, 1, vcc_lo
	v_cmp_ne_u32_e32 vcc_lo, 0, v6
	v_lshrrev_b32_e32 v7, 16, v7
	s_delay_alu instid0(VALU_DEP_3) | instskip(SKIP_4) | instid1(VALU_DEP_3)
	v_and_or_b32 v2, 0xffe, v4, v2
	s_wait_alu 0xfffd
	v_cndmask_b32_e64 v6, 0, 1, vcc_lo
	v_sub_nc_u32_e32 v4, 0x3f1, v10
	v_add_nc_u32_e32 v10, 0xfffffc10, v10
	v_and_or_b32 v6, 0xffe, v9, v6
	v_med3_i32 v9, v11, 0, 13
	v_or_b32_e32 v11, 0x1000, v2
	v_med3_i32 v4, v4, 0, 13
	s_delay_alu instid0(VALU_DEP_4) | instskip(NEXT) | instid1(VALU_DEP_3)
	v_or_b32_e32 v12, 0x1000, v6
	v_lshrrev_b32_e32 v13, v9, v11
	s_delay_alu instid0(VALU_DEP_2) | instskip(NEXT) | instid1(VALU_DEP_2)
	v_lshrrev_b32_e32 v14, v4, v12
	v_lshlrev_b32_e32 v9, v9, v13
	s_delay_alu instid0(VALU_DEP_2) | instskip(NEXT) | instid1(VALU_DEP_2)
	v_lshlrev_b32_e32 v4, v4, v14
	v_cmp_ne_u32_e32 vcc_lo, v9, v11
	v_lshl_or_b32 v11, v8, 12, v2
	s_wait_alu 0xfffd
	v_cndmask_b32_e64 v9, 0, 1, vcc_lo
	v_cmp_ne_u32_e32 vcc_lo, v4, v12
	v_lshl_or_b32 v12, v10, 12, v6
	s_delay_alu instid0(VALU_DEP_3) | instskip(SKIP_3) | instid1(VALU_DEP_2)
	v_or_b32_e32 v9, v13, v9
	s_wait_alu 0xfffd
	v_cndmask_b32_e64 v4, 0, 1, vcc_lo
	v_cmp_gt_i32_e32 vcc_lo, 1, v8
	v_or_b32_e32 v4, v14, v4
	s_wait_alu 0xfffd
	v_cndmask_b32_e32 v9, v11, v9, vcc_lo
	v_cmp_gt_i32_e32 vcc_lo, 1, v10
	s_wait_alu 0xfffd
	s_delay_alu instid0(VALU_DEP_2) | instskip(SKIP_2) | instid1(VALU_DEP_3)
	v_dual_cndmask_b32 v4, v12, v4 :: v_dual_and_b32 v11, 7, v9
	v_cmp_ne_u32_e32 vcc_lo, 0, v2
	v_lshrrev_b32_e32 v9, 2, v9
	v_cmp_eq_u32_e64 s0, 3, v11
	s_delay_alu instid0(VALU_DEP_4)
	v_and_b32_e32 v12, 7, v4
	s_wait_alu 0xfffd
	v_cndmask_b32_e64 v2, 0, 1, vcc_lo
	v_cmp_ne_u32_e32 vcc_lo, 0, v6
	v_lshrrev_b32_e32 v4, 2, v4
	v_cmp_lt_i32_e64 s1, 5, v12
	v_cmp_eq_u32_e64 s2, 3, v12
	s_wait_alu 0xfffd
	v_cndmask_b32_e64 v6, 0, 1, vcc_lo
	v_cmp_lt_i32_e32 vcc_lo, 5, v11
	v_lshl_or_b32 v2, v2, 9, 0x7c00
	s_delay_alu instid0(VALU_DEP_3)
	v_lshl_or_b32 v6, v6, 9, 0x7c00
	s_or_b32 vcc_lo, s0, vcc_lo
	s_wait_alu 0xfffe
	v_add_co_ci_u32_e32 v9, vcc_lo, 0, v9, vcc_lo
	s_or_b32 vcc_lo, s2, s1
	s_wait_alu 0xfffe
	v_add_co_ci_u32_e32 v4, vcc_lo, 0, v4, vcc_lo
	v_cmp_gt_i32_e32 vcc_lo, 31, v8
	s_wait_alu 0xfffd
	v_cndmask_b32_e32 v9, 0x7c00, v9, vcc_lo
	v_cmp_gt_i32_e32 vcc_lo, 31, v10
	s_wait_alu 0xfffd
	v_cndmask_b32_e32 v4, 0x7c00, v4, vcc_lo
	v_cmp_eq_u32_e32 vcc_lo, 0x40f, v8
	s_wait_alu 0xfffd
	v_cndmask_b32_e32 v2, v9, v2, vcc_lo
	v_cmp_eq_u32_e32 vcc_lo, 0x40f, v10
	s_delay_alu instid0(VALU_DEP_2)
	v_and_or_b32 v2, 0x8000, v5, v2
	s_wait_alu 0xfffd
	v_cndmask_b32_e32 v4, v4, v6, vcc_lo
	v_add_co_u32 v0, vcc_lo, v0, s4
	s_wait_alu 0xfffd
	v_add_co_ci_u32_e32 v1, vcc_lo, s5, v1, vcc_lo
	s_delay_alu instid0(VALU_DEP_3) | instskip(SKIP_1) | instid1(VALU_DEP_1)
	v_and_or_b32 v4, 0x8000, v7, v4
	v_and_b32_e32 v2, 0xffff, v2
	v_lshl_or_b32 v2, v4, 16, v2
	v_lshrrev_b32_e32 v4, 16, v3
	global_store_b32 v[0:1], v2, off
	global_load_b32 v2, v35, s[12:13] offset:5280
	s_wait_loadcnt 0x0
	v_lshrrev_b32_e32 v5, 16, v2
	s_delay_alu instid0(VALU_DEP_1) | instskip(SKIP_1) | instid1(VALU_DEP_2)
	v_mul_f16_e32 v6, v4, v5
	v_mul_f16_e32 v5, v3, v5
	v_fmac_f16_e32 v6, v3, v2
	s_delay_alu instid0(VALU_DEP_2) | instskip(NEXT) | instid1(VALU_DEP_2)
	v_fma_f16 v2, v2, v4, -v5
	v_cvt_f32_f16_e32 v3, v6
	s_delay_alu instid0(VALU_DEP_2) | instskip(NEXT) | instid1(VALU_DEP_2)
	v_cvt_f32_f16_e32 v4, v2
	v_cvt_f64_f32_e32 v[2:3], v3
	s_delay_alu instid0(VALU_DEP_2) | instskip(NEXT) | instid1(VALU_DEP_2)
	v_cvt_f64_f32_e32 v[4:5], v4
	v_mul_f64_e32 v[2:3], s[8:9], v[2:3]
	s_delay_alu instid0(VALU_DEP_2) | instskip(NEXT) | instid1(VALU_DEP_2)
	v_mul_f64_e32 v[4:5], s[8:9], v[4:5]
	v_and_or_b32 v2, 0x1ff, v3, v2
	s_delay_alu instid0(VALU_DEP_2)
	v_and_or_b32 v4, 0x1ff, v5, v4
	v_lshrrev_b32_e32 v6, 8, v3
	v_bfe_u32 v7, v3, 20, 11
	v_lshrrev_b32_e32 v8, 8, v5
	v_cmp_ne_u32_e32 vcc_lo, 0, v2
	v_bfe_u32 v9, v5, 20, 11
	v_lshrrev_b32_e32 v3, 16, v3
	v_sub_nc_u32_e32 v10, 0x3f1, v7
	v_add_nc_u32_e32 v7, 0xfffffc10, v7
	s_wait_alu 0xfffd
	v_cndmask_b32_e64 v2, 0, 1, vcc_lo
	v_cmp_ne_u32_e32 vcc_lo, 0, v4
	v_lshrrev_b32_e32 v5, 16, v5
	s_delay_alu instid0(VALU_DEP_3) | instskip(SKIP_4) | instid1(VALU_DEP_3)
	v_and_or_b32 v2, 0xffe, v6, v2
	s_wait_alu 0xfffd
	v_cndmask_b32_e64 v4, 0, 1, vcc_lo
	v_sub_nc_u32_e32 v6, 0x3f1, v9
	v_add_nc_u32_e32 v9, 0xfffffc10, v9
	v_and_or_b32 v4, 0xffe, v8, v4
	v_med3_i32 v8, v10, 0, 13
	v_or_b32_e32 v10, 0x1000, v2
	v_med3_i32 v6, v6, 0, 13
	s_delay_alu instid0(VALU_DEP_4) | instskip(NEXT) | instid1(VALU_DEP_3)
	v_or_b32_e32 v11, 0x1000, v4
	v_lshrrev_b32_e32 v12, v8, v10
	s_delay_alu instid0(VALU_DEP_2) | instskip(NEXT) | instid1(VALU_DEP_2)
	v_lshrrev_b32_e32 v13, v6, v11
	v_lshlrev_b32_e32 v8, v8, v12
	s_delay_alu instid0(VALU_DEP_2) | instskip(NEXT) | instid1(VALU_DEP_2)
	v_lshlrev_b32_e32 v6, v6, v13
	v_cmp_ne_u32_e32 vcc_lo, v8, v10
	v_lshl_or_b32 v10, v7, 12, v2
	s_wait_alu 0xfffd
	v_cndmask_b32_e64 v8, 0, 1, vcc_lo
	v_cmp_ne_u32_e32 vcc_lo, v6, v11
	v_lshl_or_b32 v11, v9, 12, v4
	s_delay_alu instid0(VALU_DEP_3) | instskip(SKIP_3) | instid1(VALU_DEP_2)
	v_or_b32_e32 v8, v12, v8
	s_wait_alu 0xfffd
	v_cndmask_b32_e64 v6, 0, 1, vcc_lo
	v_cmp_gt_i32_e32 vcc_lo, 1, v7
	v_or_b32_e32 v6, v13, v6
	s_wait_alu 0xfffd
	v_cndmask_b32_e32 v8, v10, v8, vcc_lo
	v_cmp_gt_i32_e32 vcc_lo, 1, v9
	s_delay_alu instid0(VALU_DEP_2)
	v_and_b32_e32 v10, 7, v8
	s_wait_alu 0xfffd
	v_cndmask_b32_e32 v6, v11, v6, vcc_lo
	v_cmp_ne_u32_e32 vcc_lo, 0, v2
	v_lshrrev_b32_e32 v8, 2, v8
	v_cmp_eq_u32_e64 s0, 3, v10
	s_delay_alu instid0(VALU_DEP_4)
	v_and_b32_e32 v11, 7, v6
	s_wait_alu 0xfffd
	v_cndmask_b32_e64 v2, 0, 1, vcc_lo
	v_cmp_ne_u32_e32 vcc_lo, 0, v4
	v_lshrrev_b32_e32 v6, 2, v6
	v_cmp_lt_i32_e64 s1, 5, v11
	v_cmp_eq_u32_e64 s2, 3, v11
	s_wait_alu 0xfffd
	v_cndmask_b32_e64 v4, 0, 1, vcc_lo
	v_cmp_lt_i32_e32 vcc_lo, 5, v10
	v_lshl_or_b32 v2, v2, 9, 0x7c00
	s_delay_alu instid0(VALU_DEP_3)
	v_lshl_or_b32 v4, v4, 9, 0x7c00
	s_or_b32 vcc_lo, s0, vcc_lo
	s_wait_alu 0xfffe
	v_add_co_ci_u32_e32 v8, vcc_lo, 0, v8, vcc_lo
	s_or_b32 vcc_lo, s2, s1
	s_wait_alu 0xfffe
	v_add_co_ci_u32_e32 v6, vcc_lo, 0, v6, vcc_lo
	v_cmp_gt_i32_e32 vcc_lo, 31, v7
	s_wait_alu 0xfffd
	v_cndmask_b32_e32 v8, 0x7c00, v8, vcc_lo
	v_cmp_gt_i32_e32 vcc_lo, 31, v9
	s_wait_alu 0xfffd
	v_cndmask_b32_e32 v6, 0x7c00, v6, vcc_lo
	v_cmp_eq_u32_e32 vcc_lo, 0x40f, v7
	s_wait_alu 0xfffd
	v_cndmask_b32_e32 v2, v8, v2, vcc_lo
	v_cmp_eq_u32_e32 vcc_lo, 0x40f, v9
	s_delay_alu instid0(VALU_DEP_2)
	v_and_or_b32 v2, 0x8000, v3, v2
	s_wait_alu 0xfffd
	v_cndmask_b32_e32 v4, v6, v4, vcc_lo
	v_add_co_u32 v0, vcc_lo, v0, s4
	s_wait_alu 0xfffd
	v_add_co_ci_u32_e32 v1, vcc_lo, s5, v1, vcc_lo
	s_delay_alu instid0(VALU_DEP_3) | instskip(SKIP_1) | instid1(VALU_DEP_1)
	v_and_or_b32 v3, 0x8000, v5, v4
	v_and_b32_e32 v2, 0xffff, v2
	v_lshl_or_b32 v2, v3, 16, v2
	global_store_b32 v[0:1], v2, off
	global_load_b32 v4, v35, s[12:13] offset:5720
	v_add_nc_u32_e32 v2, 0x1600, v35
	ds_load_2addr_b32 v[2:3], v2 offset0:22 offset1:132
	s_wait_dscnt 0x0
	v_lshrrev_b32_e32 v5, 16, v2
	s_wait_loadcnt 0x0
	v_lshrrev_b32_e32 v6, 16, v4
	s_delay_alu instid0(VALU_DEP_1) | instskip(SKIP_1) | instid1(VALU_DEP_2)
	v_mul_f16_e32 v7, v5, v6
	v_mul_f16_e32 v6, v2, v6
	v_fmac_f16_e32 v7, v2, v4
	s_delay_alu instid0(VALU_DEP_2) | instskip(NEXT) | instid1(VALU_DEP_2)
	v_fma_f16 v2, v4, v5, -v6
	v_cvt_f32_f16_e32 v4, v7
	s_delay_alu instid0(VALU_DEP_2) | instskip(NEXT) | instid1(VALU_DEP_2)
	v_cvt_f32_f16_e32 v2, v2
	v_cvt_f64_f32_e32 v[4:5], v4
	s_delay_alu instid0(VALU_DEP_2) | instskip(NEXT) | instid1(VALU_DEP_2)
	v_cvt_f64_f32_e32 v[6:7], v2
	v_mul_f64_e32 v[4:5], s[8:9], v[4:5]
	s_delay_alu instid0(VALU_DEP_2) | instskip(NEXT) | instid1(VALU_DEP_2)
	v_mul_f64_e32 v[6:7], s[8:9], v[6:7]
	v_and_or_b32 v2, 0x1ff, v5, v4
	s_delay_alu instid0(VALU_DEP_2)
	v_and_or_b32 v6, 0x1ff, v7, v6
	v_lshrrev_b32_e32 v4, 8, v5
	v_bfe_u32 v8, v5, 20, 11
	v_lshrrev_b32_e32 v9, 8, v7
	v_cmp_ne_u32_e32 vcc_lo, 0, v2
	v_bfe_u32 v10, v7, 20, 11
	v_lshrrev_b32_e32 v5, 16, v5
	v_sub_nc_u32_e32 v11, 0x3f1, v8
	v_add_nc_u32_e32 v8, 0xfffffc10, v8
	s_wait_alu 0xfffd
	v_cndmask_b32_e64 v2, 0, 1, vcc_lo
	v_cmp_ne_u32_e32 vcc_lo, 0, v6
	v_lshrrev_b32_e32 v7, 16, v7
	s_delay_alu instid0(VALU_DEP_3) | instskip(SKIP_4) | instid1(VALU_DEP_3)
	v_and_or_b32 v2, 0xffe, v4, v2
	s_wait_alu 0xfffd
	v_cndmask_b32_e64 v6, 0, 1, vcc_lo
	v_sub_nc_u32_e32 v4, 0x3f1, v10
	v_add_nc_u32_e32 v10, 0xfffffc10, v10
	v_and_or_b32 v6, 0xffe, v9, v6
	v_med3_i32 v9, v11, 0, 13
	v_or_b32_e32 v11, 0x1000, v2
	v_med3_i32 v4, v4, 0, 13
	s_delay_alu instid0(VALU_DEP_4) | instskip(NEXT) | instid1(VALU_DEP_3)
	v_or_b32_e32 v12, 0x1000, v6
	v_lshrrev_b32_e32 v13, v9, v11
	s_delay_alu instid0(VALU_DEP_2) | instskip(NEXT) | instid1(VALU_DEP_2)
	v_lshrrev_b32_e32 v14, v4, v12
	v_lshlrev_b32_e32 v9, v9, v13
	s_delay_alu instid0(VALU_DEP_2) | instskip(NEXT) | instid1(VALU_DEP_2)
	v_lshlrev_b32_e32 v4, v4, v14
	v_cmp_ne_u32_e32 vcc_lo, v9, v11
	v_lshl_or_b32 v11, v8, 12, v2
	s_wait_alu 0xfffd
	v_cndmask_b32_e64 v9, 0, 1, vcc_lo
	v_cmp_ne_u32_e32 vcc_lo, v4, v12
	v_lshl_or_b32 v12, v10, 12, v6
	s_delay_alu instid0(VALU_DEP_3) | instskip(SKIP_3) | instid1(VALU_DEP_2)
	v_or_b32_e32 v9, v13, v9
	s_wait_alu 0xfffd
	v_cndmask_b32_e64 v4, 0, 1, vcc_lo
	v_cmp_gt_i32_e32 vcc_lo, 1, v8
	v_or_b32_e32 v4, v14, v4
	s_wait_alu 0xfffd
	v_cndmask_b32_e32 v9, v11, v9, vcc_lo
	v_cmp_gt_i32_e32 vcc_lo, 1, v10
	s_wait_alu 0xfffd
	s_delay_alu instid0(VALU_DEP_2) | instskip(SKIP_2) | instid1(VALU_DEP_3)
	v_dual_cndmask_b32 v4, v12, v4 :: v_dual_and_b32 v11, 7, v9
	v_cmp_ne_u32_e32 vcc_lo, 0, v2
	v_lshrrev_b32_e32 v9, 2, v9
	v_cmp_eq_u32_e64 s0, 3, v11
	s_delay_alu instid0(VALU_DEP_4)
	v_and_b32_e32 v12, 7, v4
	s_wait_alu 0xfffd
	v_cndmask_b32_e64 v2, 0, 1, vcc_lo
	v_cmp_ne_u32_e32 vcc_lo, 0, v6
	v_lshrrev_b32_e32 v4, 2, v4
	v_cmp_lt_i32_e64 s1, 5, v12
	v_cmp_eq_u32_e64 s2, 3, v12
	s_wait_alu 0xfffd
	v_cndmask_b32_e64 v6, 0, 1, vcc_lo
	v_cmp_lt_i32_e32 vcc_lo, 5, v11
	v_lshl_or_b32 v2, v2, 9, 0x7c00
	s_delay_alu instid0(VALU_DEP_3)
	v_lshl_or_b32 v6, v6, 9, 0x7c00
	s_or_b32 vcc_lo, s0, vcc_lo
	s_wait_alu 0xfffe
	v_add_co_ci_u32_e32 v9, vcc_lo, 0, v9, vcc_lo
	s_or_b32 vcc_lo, s2, s1
	s_wait_alu 0xfffe
	v_add_co_ci_u32_e32 v4, vcc_lo, 0, v4, vcc_lo
	v_cmp_gt_i32_e32 vcc_lo, 31, v8
	s_wait_alu 0xfffd
	v_cndmask_b32_e32 v9, 0x7c00, v9, vcc_lo
	v_cmp_gt_i32_e32 vcc_lo, 31, v10
	s_wait_alu 0xfffd
	v_cndmask_b32_e32 v4, 0x7c00, v4, vcc_lo
	v_cmp_eq_u32_e32 vcc_lo, 0x40f, v8
	s_wait_alu 0xfffd
	v_cndmask_b32_e32 v2, v9, v2, vcc_lo
	v_cmp_eq_u32_e32 vcc_lo, 0x40f, v10
	s_delay_alu instid0(VALU_DEP_2)
	v_and_or_b32 v2, 0x8000, v5, v2
	s_wait_alu 0xfffd
	v_cndmask_b32_e32 v4, v4, v6, vcc_lo
	v_add_co_u32 v0, vcc_lo, v0, s4
	s_wait_alu 0xfffd
	v_add_co_ci_u32_e32 v1, vcc_lo, s5, v1, vcc_lo
	s_delay_alu instid0(VALU_DEP_3) | instskip(SKIP_1) | instid1(VALU_DEP_1)
	v_and_or_b32 v4, 0x8000, v7, v4
	v_and_b32_e32 v2, 0xffff, v2
	v_lshl_or_b32 v2, v4, 16, v2
	v_lshrrev_b32_e32 v4, 16, v3
	global_store_b32 v[0:1], v2, off
	global_load_b32 v2, v35, s[12:13] offset:6160
	s_wait_loadcnt 0x0
	v_lshrrev_b32_e32 v5, 16, v2
	s_delay_alu instid0(VALU_DEP_1) | instskip(SKIP_1) | instid1(VALU_DEP_2)
	v_mul_f16_e32 v6, v4, v5
	v_mul_f16_e32 v5, v3, v5
	v_fmac_f16_e32 v6, v3, v2
	s_delay_alu instid0(VALU_DEP_2) | instskip(NEXT) | instid1(VALU_DEP_2)
	v_fma_f16 v2, v2, v4, -v5
	v_cvt_f32_f16_e32 v3, v6
	s_delay_alu instid0(VALU_DEP_2) | instskip(NEXT) | instid1(VALU_DEP_2)
	v_cvt_f32_f16_e32 v4, v2
	v_cvt_f64_f32_e32 v[2:3], v3
	s_delay_alu instid0(VALU_DEP_2) | instskip(NEXT) | instid1(VALU_DEP_2)
	v_cvt_f64_f32_e32 v[4:5], v4
	v_mul_f64_e32 v[2:3], s[8:9], v[2:3]
	s_delay_alu instid0(VALU_DEP_2) | instskip(NEXT) | instid1(VALU_DEP_2)
	v_mul_f64_e32 v[4:5], s[8:9], v[4:5]
	v_and_or_b32 v2, 0x1ff, v3, v2
	s_delay_alu instid0(VALU_DEP_2)
	v_and_or_b32 v4, 0x1ff, v5, v4
	v_lshrrev_b32_e32 v6, 8, v3
	v_bfe_u32 v7, v3, 20, 11
	v_lshrrev_b32_e32 v8, 8, v5
	v_cmp_ne_u32_e32 vcc_lo, 0, v2
	v_bfe_u32 v9, v5, 20, 11
	v_lshrrev_b32_e32 v3, 16, v3
	v_sub_nc_u32_e32 v10, 0x3f1, v7
	v_add_nc_u32_e32 v7, 0xfffffc10, v7
	s_wait_alu 0xfffd
	v_cndmask_b32_e64 v2, 0, 1, vcc_lo
	v_cmp_ne_u32_e32 vcc_lo, 0, v4
	v_lshrrev_b32_e32 v5, 16, v5
	s_delay_alu instid0(VALU_DEP_3) | instskip(SKIP_4) | instid1(VALU_DEP_3)
	v_and_or_b32 v2, 0xffe, v6, v2
	s_wait_alu 0xfffd
	v_cndmask_b32_e64 v4, 0, 1, vcc_lo
	v_sub_nc_u32_e32 v6, 0x3f1, v9
	v_add_nc_u32_e32 v9, 0xfffffc10, v9
	v_and_or_b32 v4, 0xffe, v8, v4
	v_med3_i32 v8, v10, 0, 13
	v_or_b32_e32 v10, 0x1000, v2
	v_med3_i32 v6, v6, 0, 13
	s_delay_alu instid0(VALU_DEP_4) | instskip(NEXT) | instid1(VALU_DEP_3)
	v_or_b32_e32 v11, 0x1000, v4
	v_lshrrev_b32_e32 v12, v8, v10
	s_delay_alu instid0(VALU_DEP_2) | instskip(NEXT) | instid1(VALU_DEP_2)
	v_lshrrev_b32_e32 v13, v6, v11
	v_lshlrev_b32_e32 v8, v8, v12
	s_delay_alu instid0(VALU_DEP_2) | instskip(NEXT) | instid1(VALU_DEP_2)
	v_lshlrev_b32_e32 v6, v6, v13
	v_cmp_ne_u32_e32 vcc_lo, v8, v10
	v_lshl_or_b32 v10, v7, 12, v2
	s_wait_alu 0xfffd
	v_cndmask_b32_e64 v8, 0, 1, vcc_lo
	v_cmp_ne_u32_e32 vcc_lo, v6, v11
	v_lshl_or_b32 v11, v9, 12, v4
	s_delay_alu instid0(VALU_DEP_3) | instskip(SKIP_3) | instid1(VALU_DEP_2)
	v_or_b32_e32 v8, v12, v8
	s_wait_alu 0xfffd
	v_cndmask_b32_e64 v6, 0, 1, vcc_lo
	v_cmp_gt_i32_e32 vcc_lo, 1, v7
	v_or_b32_e32 v6, v13, v6
	s_wait_alu 0xfffd
	v_cndmask_b32_e32 v8, v10, v8, vcc_lo
	v_cmp_gt_i32_e32 vcc_lo, 1, v9
	s_delay_alu instid0(VALU_DEP_2)
	v_and_b32_e32 v10, 7, v8
	s_wait_alu 0xfffd
	v_cndmask_b32_e32 v6, v11, v6, vcc_lo
	v_cmp_ne_u32_e32 vcc_lo, 0, v2
	v_lshrrev_b32_e32 v8, 2, v8
	v_cmp_eq_u32_e64 s0, 3, v10
	s_delay_alu instid0(VALU_DEP_4)
	v_and_b32_e32 v11, 7, v6
	s_wait_alu 0xfffd
	v_cndmask_b32_e64 v2, 0, 1, vcc_lo
	v_cmp_ne_u32_e32 vcc_lo, 0, v4
	v_lshrrev_b32_e32 v6, 2, v6
	v_cmp_lt_i32_e64 s1, 5, v11
	v_cmp_eq_u32_e64 s2, 3, v11
	s_wait_alu 0xfffd
	v_cndmask_b32_e64 v4, 0, 1, vcc_lo
	v_cmp_lt_i32_e32 vcc_lo, 5, v10
	v_lshl_or_b32 v2, v2, 9, 0x7c00
	s_delay_alu instid0(VALU_DEP_3)
	v_lshl_or_b32 v4, v4, 9, 0x7c00
	s_or_b32 vcc_lo, s0, vcc_lo
	s_wait_alu 0xfffe
	v_add_co_ci_u32_e32 v8, vcc_lo, 0, v8, vcc_lo
	s_or_b32 vcc_lo, s2, s1
	s_wait_alu 0xfffe
	v_add_co_ci_u32_e32 v6, vcc_lo, 0, v6, vcc_lo
	v_cmp_gt_i32_e32 vcc_lo, 31, v7
	s_wait_alu 0xfffd
	v_cndmask_b32_e32 v8, 0x7c00, v8, vcc_lo
	v_cmp_gt_i32_e32 vcc_lo, 31, v9
	s_wait_alu 0xfffd
	v_cndmask_b32_e32 v6, 0x7c00, v6, vcc_lo
	v_cmp_eq_u32_e32 vcc_lo, 0x40f, v7
	s_wait_alu 0xfffd
	v_cndmask_b32_e32 v2, v8, v2, vcc_lo
	v_cmp_eq_u32_e32 vcc_lo, 0x40f, v9
	s_delay_alu instid0(VALU_DEP_2)
	v_and_or_b32 v2, 0x8000, v3, v2
	s_wait_alu 0xfffd
	v_cndmask_b32_e32 v4, v6, v4, vcc_lo
	v_add_co_u32 v0, vcc_lo, v0, s4
	s_wait_alu 0xfffd
	v_add_co_ci_u32_e32 v1, vcc_lo, s5, v1, vcc_lo
	s_delay_alu instid0(VALU_DEP_3) | instskip(SKIP_1) | instid1(VALU_DEP_1)
	v_and_or_b32 v3, 0x8000, v5, v4
	v_and_b32_e32 v2, 0xffff, v2
	v_lshl_or_b32 v2, v3, 16, v2
	global_store_b32 v[0:1], v2, off
	global_load_b32 v4, v35, s[12:13] offset:6600
	v_add_nc_u32_e32 v2, 0x1800, v35
	ds_load_2addr_b32 v[2:3], v2 offset0:114 offset1:224
	s_wait_dscnt 0x0
	v_lshrrev_b32_e32 v5, 16, v2
	s_wait_loadcnt 0x0
	v_lshrrev_b32_e32 v6, 16, v4
	s_delay_alu instid0(VALU_DEP_1) | instskip(SKIP_1) | instid1(VALU_DEP_2)
	v_mul_f16_e32 v7, v5, v6
	v_mul_f16_e32 v6, v2, v6
	v_fmac_f16_e32 v7, v2, v4
	s_delay_alu instid0(VALU_DEP_2) | instskip(NEXT) | instid1(VALU_DEP_2)
	v_fma_f16 v2, v4, v5, -v6
	v_cvt_f32_f16_e32 v4, v7
	s_delay_alu instid0(VALU_DEP_2) | instskip(NEXT) | instid1(VALU_DEP_2)
	v_cvt_f32_f16_e32 v2, v2
	v_cvt_f64_f32_e32 v[4:5], v4
	s_delay_alu instid0(VALU_DEP_2) | instskip(NEXT) | instid1(VALU_DEP_2)
	v_cvt_f64_f32_e32 v[6:7], v2
	v_mul_f64_e32 v[4:5], s[8:9], v[4:5]
	s_delay_alu instid0(VALU_DEP_2) | instskip(NEXT) | instid1(VALU_DEP_2)
	v_mul_f64_e32 v[6:7], s[8:9], v[6:7]
	v_and_or_b32 v2, 0x1ff, v5, v4
	s_delay_alu instid0(VALU_DEP_2)
	v_and_or_b32 v6, 0x1ff, v7, v6
	v_lshrrev_b32_e32 v4, 8, v5
	v_bfe_u32 v8, v5, 20, 11
	v_lshrrev_b32_e32 v9, 8, v7
	v_cmp_ne_u32_e32 vcc_lo, 0, v2
	v_bfe_u32 v10, v7, 20, 11
	v_lshrrev_b32_e32 v5, 16, v5
	v_sub_nc_u32_e32 v11, 0x3f1, v8
	v_add_nc_u32_e32 v8, 0xfffffc10, v8
	s_wait_alu 0xfffd
	v_cndmask_b32_e64 v2, 0, 1, vcc_lo
	v_cmp_ne_u32_e32 vcc_lo, 0, v6
	v_lshrrev_b32_e32 v7, 16, v7
	s_delay_alu instid0(VALU_DEP_3) | instskip(SKIP_4) | instid1(VALU_DEP_3)
	v_and_or_b32 v2, 0xffe, v4, v2
	s_wait_alu 0xfffd
	v_cndmask_b32_e64 v6, 0, 1, vcc_lo
	v_sub_nc_u32_e32 v4, 0x3f1, v10
	v_add_nc_u32_e32 v10, 0xfffffc10, v10
	v_and_or_b32 v6, 0xffe, v9, v6
	v_med3_i32 v9, v11, 0, 13
	v_or_b32_e32 v11, 0x1000, v2
	v_med3_i32 v4, v4, 0, 13
	s_delay_alu instid0(VALU_DEP_4) | instskip(NEXT) | instid1(VALU_DEP_3)
	v_or_b32_e32 v12, 0x1000, v6
	v_lshrrev_b32_e32 v13, v9, v11
	s_delay_alu instid0(VALU_DEP_2) | instskip(NEXT) | instid1(VALU_DEP_2)
	v_lshrrev_b32_e32 v14, v4, v12
	v_lshlrev_b32_e32 v9, v9, v13
	s_delay_alu instid0(VALU_DEP_2) | instskip(NEXT) | instid1(VALU_DEP_2)
	v_lshlrev_b32_e32 v4, v4, v14
	v_cmp_ne_u32_e32 vcc_lo, v9, v11
	v_lshl_or_b32 v11, v8, 12, v2
	s_wait_alu 0xfffd
	v_cndmask_b32_e64 v9, 0, 1, vcc_lo
	v_cmp_ne_u32_e32 vcc_lo, v4, v12
	v_lshl_or_b32 v12, v10, 12, v6
	s_delay_alu instid0(VALU_DEP_3) | instskip(SKIP_3) | instid1(VALU_DEP_2)
	v_or_b32_e32 v9, v13, v9
	s_wait_alu 0xfffd
	v_cndmask_b32_e64 v4, 0, 1, vcc_lo
	v_cmp_gt_i32_e32 vcc_lo, 1, v8
	v_or_b32_e32 v4, v14, v4
	s_wait_alu 0xfffd
	v_cndmask_b32_e32 v9, v11, v9, vcc_lo
	v_cmp_gt_i32_e32 vcc_lo, 1, v10
	s_wait_alu 0xfffd
	s_delay_alu instid0(VALU_DEP_2) | instskip(SKIP_2) | instid1(VALU_DEP_3)
	v_dual_cndmask_b32 v4, v12, v4 :: v_dual_and_b32 v11, 7, v9
	v_cmp_ne_u32_e32 vcc_lo, 0, v2
	v_lshrrev_b32_e32 v9, 2, v9
	v_cmp_eq_u32_e64 s0, 3, v11
	s_delay_alu instid0(VALU_DEP_4)
	v_and_b32_e32 v12, 7, v4
	s_wait_alu 0xfffd
	v_cndmask_b32_e64 v2, 0, 1, vcc_lo
	v_cmp_ne_u32_e32 vcc_lo, 0, v6
	v_lshrrev_b32_e32 v4, 2, v4
	v_cmp_lt_i32_e64 s1, 5, v12
	v_cmp_eq_u32_e64 s2, 3, v12
	s_wait_alu 0xfffd
	v_cndmask_b32_e64 v6, 0, 1, vcc_lo
	v_cmp_lt_i32_e32 vcc_lo, 5, v11
	v_lshl_or_b32 v2, v2, 9, 0x7c00
	s_delay_alu instid0(VALU_DEP_3)
	v_lshl_or_b32 v6, v6, 9, 0x7c00
	s_or_b32 vcc_lo, s0, vcc_lo
	s_wait_alu 0xfffe
	v_add_co_ci_u32_e32 v9, vcc_lo, 0, v9, vcc_lo
	s_or_b32 vcc_lo, s2, s1
	s_wait_alu 0xfffe
	v_add_co_ci_u32_e32 v4, vcc_lo, 0, v4, vcc_lo
	v_cmp_gt_i32_e32 vcc_lo, 31, v8
	s_wait_alu 0xfffd
	v_cndmask_b32_e32 v9, 0x7c00, v9, vcc_lo
	v_cmp_gt_i32_e32 vcc_lo, 31, v10
	s_wait_alu 0xfffd
	v_cndmask_b32_e32 v4, 0x7c00, v4, vcc_lo
	v_cmp_eq_u32_e32 vcc_lo, 0x40f, v8
	s_wait_alu 0xfffd
	v_cndmask_b32_e32 v2, v9, v2, vcc_lo
	v_cmp_eq_u32_e32 vcc_lo, 0x40f, v10
	s_delay_alu instid0(VALU_DEP_2)
	v_and_or_b32 v2, 0x8000, v5, v2
	s_wait_alu 0xfffd
	v_cndmask_b32_e32 v4, v4, v6, vcc_lo
	v_add_co_u32 v0, vcc_lo, v0, s4
	s_wait_alu 0xfffd
	v_add_co_ci_u32_e32 v1, vcc_lo, s5, v1, vcc_lo
	s_delay_alu instid0(VALU_DEP_3) | instskip(SKIP_1) | instid1(VALU_DEP_1)
	v_and_or_b32 v4, 0x8000, v7, v4
	v_and_b32_e32 v2, 0xffff, v2
	v_lshl_or_b32 v2, v4, 16, v2
	v_lshrrev_b32_e32 v4, 16, v3
	global_store_b32 v[0:1], v2, off
	global_load_b32 v2, v35, s[12:13] offset:7040
	s_wait_loadcnt 0x0
	v_lshrrev_b32_e32 v5, 16, v2
	s_delay_alu instid0(VALU_DEP_1) | instskip(SKIP_1) | instid1(VALU_DEP_2)
	v_mul_f16_e32 v6, v4, v5
	v_mul_f16_e32 v5, v3, v5
	v_fmac_f16_e32 v6, v3, v2
	s_delay_alu instid0(VALU_DEP_2) | instskip(NEXT) | instid1(VALU_DEP_2)
	v_fma_f16 v2, v2, v4, -v5
	v_cvt_f32_f16_e32 v3, v6
	s_delay_alu instid0(VALU_DEP_2) | instskip(NEXT) | instid1(VALU_DEP_2)
	v_cvt_f32_f16_e32 v4, v2
	v_cvt_f64_f32_e32 v[2:3], v3
	s_delay_alu instid0(VALU_DEP_2) | instskip(NEXT) | instid1(VALU_DEP_2)
	v_cvt_f64_f32_e32 v[4:5], v4
	v_mul_f64_e32 v[2:3], s[8:9], v[2:3]
	s_delay_alu instid0(VALU_DEP_2) | instskip(NEXT) | instid1(VALU_DEP_2)
	v_mul_f64_e32 v[4:5], s[8:9], v[4:5]
	v_and_or_b32 v2, 0x1ff, v3, v2
	s_delay_alu instid0(VALU_DEP_2)
	v_and_or_b32 v4, 0x1ff, v5, v4
	v_lshrrev_b32_e32 v6, 8, v3
	v_bfe_u32 v7, v3, 20, 11
	v_lshrrev_b32_e32 v8, 8, v5
	v_cmp_ne_u32_e32 vcc_lo, 0, v2
	v_bfe_u32 v9, v5, 20, 11
	v_lshrrev_b32_e32 v3, 16, v3
	v_sub_nc_u32_e32 v10, 0x3f1, v7
	v_add_nc_u32_e32 v7, 0xfffffc10, v7
	s_wait_alu 0xfffd
	v_cndmask_b32_e64 v2, 0, 1, vcc_lo
	v_cmp_ne_u32_e32 vcc_lo, 0, v4
	v_lshrrev_b32_e32 v5, 16, v5
	s_delay_alu instid0(VALU_DEP_3) | instskip(SKIP_4) | instid1(VALU_DEP_3)
	v_and_or_b32 v2, 0xffe, v6, v2
	s_wait_alu 0xfffd
	v_cndmask_b32_e64 v4, 0, 1, vcc_lo
	v_sub_nc_u32_e32 v6, 0x3f1, v9
	v_add_nc_u32_e32 v9, 0xfffffc10, v9
	v_and_or_b32 v4, 0xffe, v8, v4
	v_med3_i32 v8, v10, 0, 13
	v_or_b32_e32 v10, 0x1000, v2
	v_med3_i32 v6, v6, 0, 13
	s_delay_alu instid0(VALU_DEP_4) | instskip(NEXT) | instid1(VALU_DEP_3)
	v_or_b32_e32 v11, 0x1000, v4
	v_lshrrev_b32_e32 v12, v8, v10
	s_delay_alu instid0(VALU_DEP_2) | instskip(NEXT) | instid1(VALU_DEP_2)
	v_lshrrev_b32_e32 v13, v6, v11
	v_lshlrev_b32_e32 v8, v8, v12
	s_delay_alu instid0(VALU_DEP_2) | instskip(NEXT) | instid1(VALU_DEP_2)
	v_lshlrev_b32_e32 v6, v6, v13
	v_cmp_ne_u32_e32 vcc_lo, v8, v10
	v_lshl_or_b32 v10, v7, 12, v2
	s_wait_alu 0xfffd
	v_cndmask_b32_e64 v8, 0, 1, vcc_lo
	v_cmp_ne_u32_e32 vcc_lo, v6, v11
	v_lshl_or_b32 v11, v9, 12, v4
	s_delay_alu instid0(VALU_DEP_3) | instskip(SKIP_3) | instid1(VALU_DEP_2)
	v_or_b32_e32 v8, v12, v8
	s_wait_alu 0xfffd
	v_cndmask_b32_e64 v6, 0, 1, vcc_lo
	v_cmp_gt_i32_e32 vcc_lo, 1, v7
	v_or_b32_e32 v6, v13, v6
	s_wait_alu 0xfffd
	v_cndmask_b32_e32 v8, v10, v8, vcc_lo
	v_cmp_gt_i32_e32 vcc_lo, 1, v9
	s_delay_alu instid0(VALU_DEP_2)
	v_and_b32_e32 v10, 7, v8
	s_wait_alu 0xfffd
	v_cndmask_b32_e32 v6, v11, v6, vcc_lo
	v_cmp_ne_u32_e32 vcc_lo, 0, v2
	v_lshrrev_b32_e32 v8, 2, v8
	v_cmp_eq_u32_e64 s0, 3, v10
	s_delay_alu instid0(VALU_DEP_4)
	v_and_b32_e32 v11, 7, v6
	s_wait_alu 0xfffd
	v_cndmask_b32_e64 v2, 0, 1, vcc_lo
	v_cmp_ne_u32_e32 vcc_lo, 0, v4
	v_lshrrev_b32_e32 v6, 2, v6
	v_cmp_lt_i32_e64 s1, 5, v11
	v_cmp_eq_u32_e64 s2, 3, v11
	s_wait_alu 0xfffd
	v_cndmask_b32_e64 v4, 0, 1, vcc_lo
	v_cmp_lt_i32_e32 vcc_lo, 5, v10
	v_lshl_or_b32 v2, v2, 9, 0x7c00
	s_delay_alu instid0(VALU_DEP_3)
	v_lshl_or_b32 v4, v4, 9, 0x7c00
	s_or_b32 vcc_lo, s0, vcc_lo
	s_wait_alu 0xfffe
	v_add_co_ci_u32_e32 v8, vcc_lo, 0, v8, vcc_lo
	s_or_b32 vcc_lo, s2, s1
	s_wait_alu 0xfffe
	v_add_co_ci_u32_e32 v6, vcc_lo, 0, v6, vcc_lo
	v_cmp_gt_i32_e32 vcc_lo, 31, v7
	s_wait_alu 0xfffd
	v_cndmask_b32_e32 v8, 0x7c00, v8, vcc_lo
	v_cmp_gt_i32_e32 vcc_lo, 31, v9
	s_wait_alu 0xfffd
	v_cndmask_b32_e32 v6, 0x7c00, v6, vcc_lo
	v_cmp_eq_u32_e32 vcc_lo, 0x40f, v7
	s_wait_alu 0xfffd
	v_cndmask_b32_e32 v2, v8, v2, vcc_lo
	v_cmp_eq_u32_e32 vcc_lo, 0x40f, v9
	s_delay_alu instid0(VALU_DEP_2)
	v_and_or_b32 v2, 0x8000, v3, v2
	s_wait_alu 0xfffd
	v_cndmask_b32_e32 v4, v6, v4, vcc_lo
	v_add_co_u32 v0, vcc_lo, v0, s4
	s_wait_alu 0xfffd
	v_add_co_ci_u32_e32 v1, vcc_lo, s5, v1, vcc_lo
	s_delay_alu instid0(VALU_DEP_3) | instskip(SKIP_1) | instid1(VALU_DEP_1)
	v_and_or_b32 v3, 0x8000, v5, v4
	v_and_b32_e32 v2, 0xffff, v2
	v_lshl_or_b32 v2, v3, 16, v2
	global_store_b32 v[0:1], v2, off
.LBB0_23:
	s_nop 0
	s_sendmsg sendmsg(MSG_DEALLOC_VGPRS)
	s_endpgm
	.section	.rodata,"a",@progbits
	.p2align	6, 0x0
	.amdhsa_kernel bluestein_single_fwd_len1870_dim1_half_op_CI_CI
		.amdhsa_group_segment_fixed_size 7480
		.amdhsa_private_segment_fixed_size 0
		.amdhsa_kernarg_size 104
		.amdhsa_user_sgpr_count 2
		.amdhsa_user_sgpr_dispatch_ptr 0
		.amdhsa_user_sgpr_queue_ptr 0
		.amdhsa_user_sgpr_kernarg_segment_ptr 1
		.amdhsa_user_sgpr_dispatch_id 0
		.amdhsa_user_sgpr_private_segment_size 0
		.amdhsa_wavefront_size32 1
		.amdhsa_uses_dynamic_stack 0
		.amdhsa_enable_private_segment 0
		.amdhsa_system_sgpr_workgroup_id_x 1
		.amdhsa_system_sgpr_workgroup_id_y 0
		.amdhsa_system_sgpr_workgroup_id_z 0
		.amdhsa_system_sgpr_workgroup_info 0
		.amdhsa_system_vgpr_workitem_id 0
		.amdhsa_next_free_vgpr 226
		.amdhsa_next_free_sgpr 16
		.amdhsa_reserve_vcc 1
		.amdhsa_float_round_mode_32 0
		.amdhsa_float_round_mode_16_64 0
		.amdhsa_float_denorm_mode_32 3
		.amdhsa_float_denorm_mode_16_64 3
		.amdhsa_fp16_overflow 0
		.amdhsa_workgroup_processor_mode 1
		.amdhsa_memory_ordered 1
		.amdhsa_forward_progress 0
		.amdhsa_round_robin_scheduling 0
		.amdhsa_exception_fp_ieee_invalid_op 0
		.amdhsa_exception_fp_denorm_src 0
		.amdhsa_exception_fp_ieee_div_zero 0
		.amdhsa_exception_fp_ieee_overflow 0
		.amdhsa_exception_fp_ieee_underflow 0
		.amdhsa_exception_fp_ieee_inexact 0
		.amdhsa_exception_int_div_zero 0
	.end_amdhsa_kernel
	.text
.Lfunc_end0:
	.size	bluestein_single_fwd_len1870_dim1_half_op_CI_CI, .Lfunc_end0-bluestein_single_fwd_len1870_dim1_half_op_CI_CI
                                        ; -- End function
	.section	.AMDGPU.csdata,"",@progbits
; Kernel info:
; codeLenInByte = 36836
; NumSgprs: 18
; NumVgprs: 226
; ScratchSize: 0
; MemoryBound: 0
; FloatMode: 240
; IeeeMode: 1
; LDSByteSize: 7480 bytes/workgroup (compile time only)
; SGPRBlocks: 2
; VGPRBlocks: 28
; NumSGPRsForWavesPerEU: 18
; NumVGPRsForWavesPerEU: 226
; Occupancy: 6
; WaveLimiterHint : 1
; COMPUTE_PGM_RSRC2:SCRATCH_EN: 0
; COMPUTE_PGM_RSRC2:USER_SGPR: 2
; COMPUTE_PGM_RSRC2:TRAP_HANDLER: 0
; COMPUTE_PGM_RSRC2:TGID_X_EN: 1
; COMPUTE_PGM_RSRC2:TGID_Y_EN: 0
; COMPUTE_PGM_RSRC2:TGID_Z_EN: 0
; COMPUTE_PGM_RSRC2:TIDIG_COMP_CNT: 0
	.text
	.p2alignl 7, 3214868480
	.fill 96, 4, 3214868480
	.type	__hip_cuid_460be4a09a3f2997,@object ; @__hip_cuid_460be4a09a3f2997
	.section	.bss,"aw",@nobits
	.globl	__hip_cuid_460be4a09a3f2997
__hip_cuid_460be4a09a3f2997:
	.byte	0                               ; 0x0
	.size	__hip_cuid_460be4a09a3f2997, 1

	.ident	"AMD clang version 19.0.0git (https://github.com/RadeonOpenCompute/llvm-project roc-6.4.0 25133 c7fe45cf4b819c5991fe208aaa96edf142730f1d)"
	.section	".note.GNU-stack","",@progbits
	.addrsig
	.addrsig_sym __hip_cuid_460be4a09a3f2997
	.amdgpu_metadata
---
amdhsa.kernels:
  - .args:
      - .actual_access:  read_only
        .address_space:  global
        .offset:         0
        .size:           8
        .value_kind:     global_buffer
      - .actual_access:  read_only
        .address_space:  global
        .offset:         8
        .size:           8
        .value_kind:     global_buffer
      - .actual_access:  read_only
        .address_space:  global
        .offset:         16
        .size:           8
        .value_kind:     global_buffer
      - .actual_access:  read_only
        .address_space:  global
        .offset:         24
        .size:           8
        .value_kind:     global_buffer
      - .actual_access:  read_only
        .address_space:  global
        .offset:         32
        .size:           8
        .value_kind:     global_buffer
      - .offset:         40
        .size:           8
        .value_kind:     by_value
      - .address_space:  global
        .offset:         48
        .size:           8
        .value_kind:     global_buffer
      - .address_space:  global
        .offset:         56
        .size:           8
        .value_kind:     global_buffer
      - .address_space:  global
        .offset:         64
        .size:           8
        .value_kind:     global_buffer
      - .address_space:  global
        .offset:         72
        .size:           8
        .value_kind:     global_buffer
      - .offset:         80
        .size:           4
        .value_kind:     by_value
      - .address_space:  global
        .offset:         88
        .size:           8
        .value_kind:     global_buffer
      - .address_space:  global
        .offset:         96
        .size:           8
        .value_kind:     global_buffer
    .group_segment_fixed_size: 7480
    .kernarg_segment_align: 8
    .kernarg_segment_size: 104
    .language:       OpenCL C
    .language_version:
      - 2
      - 0
    .max_flat_workgroup_size: 187
    .name:           bluestein_single_fwd_len1870_dim1_half_op_CI_CI
    .private_segment_fixed_size: 0
    .sgpr_count:     18
    .sgpr_spill_count: 0
    .symbol:         bluestein_single_fwd_len1870_dim1_half_op_CI_CI.kd
    .uniform_work_group_size: 1
    .uses_dynamic_stack: false
    .vgpr_count:     226
    .vgpr_spill_count: 0
    .wavefront_size: 32
    .workgroup_processor_mode: 1
amdhsa.target:   amdgcn-amd-amdhsa--gfx1201
amdhsa.version:
  - 1
  - 2
...

	.end_amdgpu_metadata
